;; amdgpu-corpus repo=ROCm/rocFFT kind=compiled arch=gfx1030 opt=O3
	.text
	.amdgcn_target "amdgcn-amd-amdhsa--gfx1030"
	.amdhsa_code_object_version 6
	.protected	fft_rtc_back_len1400_factors_2_2_2_5_7_5_wgs_56_tpt_56_halfLds_half_ip_CI_sbrr_dirReg ; -- Begin function fft_rtc_back_len1400_factors_2_2_2_5_7_5_wgs_56_tpt_56_halfLds_half_ip_CI_sbrr_dirReg
	.globl	fft_rtc_back_len1400_factors_2_2_2_5_7_5_wgs_56_tpt_56_halfLds_half_ip_CI_sbrr_dirReg
	.p2align	8
	.type	fft_rtc_back_len1400_factors_2_2_2_5_7_5_wgs_56_tpt_56_halfLds_half_ip_CI_sbrr_dirReg,@function
fft_rtc_back_len1400_factors_2_2_2_5_7_5_wgs_56_tpt_56_halfLds_half_ip_CI_sbrr_dirReg: ; @fft_rtc_back_len1400_factors_2_2_2_5_7_5_wgs_56_tpt_56_halfLds_half_ip_CI_sbrr_dirReg
; %bb.0:
	s_clause 0x2
	s_load_dwordx2 s[14:15], s[4:5], 0x18
	s_load_dwordx4 s[8:11], s[4:5], 0x0
	s_load_dwordx2 s[12:13], s[4:5], 0x50
	v_mul_u32_u24_e32 v1, 0x493, v0
	v_mov_b32_e32 v3, 0
	v_add_nc_u32_sdwa v5, s6, v1 dst_sel:DWORD dst_unused:UNUSED_PAD src0_sel:DWORD src1_sel:WORD_1
	v_mov_b32_e32 v1, 0
	v_mov_b32_e32 v6, v3
	v_mov_b32_e32 v2, 0
	s_waitcnt lgkmcnt(0)
	s_load_dwordx2 s[2:3], s[14:15], 0x0
	v_cmp_lt_u64_e64 s0, s[10:11], 2
	s_and_b32 vcc_lo, exec_lo, s0
	s_cbranch_vccnz .LBB0_8
; %bb.1:
	s_load_dwordx2 s[0:1], s[4:5], 0x10
	v_mov_b32_e32 v1, 0
	s_add_u32 s6, s14, 8
	v_mov_b32_e32 v2, 0
	s_addc_u32 s7, s15, 0
	s_mov_b64 s[18:19], 1
	s_waitcnt lgkmcnt(0)
	s_add_u32 s16, s0, 8
	s_addc_u32 s17, s1, 0
.LBB0_2:                                ; =>This Inner Loop Header: Depth=1
	s_load_dwordx2 s[20:21], s[16:17], 0x0
                                        ; implicit-def: $vgpr7_vgpr8
	s_mov_b32 s0, exec_lo
	s_waitcnt lgkmcnt(0)
	v_or_b32_e32 v4, s21, v6
	v_cmpx_ne_u64_e32 0, v[3:4]
	s_xor_b32 s1, exec_lo, s0
	s_cbranch_execz .LBB0_4
; %bb.3:                                ;   in Loop: Header=BB0_2 Depth=1
	v_cvt_f32_u32_e32 v4, s20
	v_cvt_f32_u32_e32 v7, s21
	s_sub_u32 s0, 0, s20
	s_subb_u32 s22, 0, s21
	v_fmac_f32_e32 v4, 0x4f800000, v7
	v_rcp_f32_e32 v4, v4
	v_mul_f32_e32 v4, 0x5f7ffffc, v4
	v_mul_f32_e32 v7, 0x2f800000, v4
	v_trunc_f32_e32 v7, v7
	v_fmac_f32_e32 v4, 0xcf800000, v7
	v_cvt_u32_f32_e32 v7, v7
	v_cvt_u32_f32_e32 v4, v4
	v_mul_lo_u32 v8, s0, v7
	v_mul_hi_u32 v9, s0, v4
	v_mul_lo_u32 v10, s22, v4
	v_add_nc_u32_e32 v8, v9, v8
	v_mul_lo_u32 v9, s0, v4
	v_add_nc_u32_e32 v8, v8, v10
	v_mul_hi_u32 v10, v4, v9
	v_mul_lo_u32 v11, v4, v8
	v_mul_hi_u32 v12, v4, v8
	v_mul_hi_u32 v13, v7, v9
	v_mul_lo_u32 v9, v7, v9
	v_mul_hi_u32 v14, v7, v8
	v_mul_lo_u32 v8, v7, v8
	v_add_co_u32 v10, vcc_lo, v10, v11
	v_add_co_ci_u32_e32 v11, vcc_lo, 0, v12, vcc_lo
	v_add_co_u32 v9, vcc_lo, v10, v9
	v_add_co_ci_u32_e32 v9, vcc_lo, v11, v13, vcc_lo
	v_add_co_ci_u32_e32 v10, vcc_lo, 0, v14, vcc_lo
	v_add_co_u32 v8, vcc_lo, v9, v8
	v_add_co_ci_u32_e32 v9, vcc_lo, 0, v10, vcc_lo
	v_add_co_u32 v4, vcc_lo, v4, v8
	v_add_co_ci_u32_e32 v7, vcc_lo, v7, v9, vcc_lo
	v_mul_hi_u32 v8, s0, v4
	v_mul_lo_u32 v10, s22, v4
	v_mul_lo_u32 v9, s0, v7
	v_add_nc_u32_e32 v8, v8, v9
	v_mul_lo_u32 v9, s0, v4
	v_add_nc_u32_e32 v8, v8, v10
	v_mul_hi_u32 v10, v4, v9
	v_mul_lo_u32 v11, v4, v8
	v_mul_hi_u32 v12, v4, v8
	v_mul_hi_u32 v13, v7, v9
	v_mul_lo_u32 v9, v7, v9
	v_mul_hi_u32 v14, v7, v8
	v_mul_lo_u32 v8, v7, v8
	v_add_co_u32 v10, vcc_lo, v10, v11
	v_add_co_ci_u32_e32 v11, vcc_lo, 0, v12, vcc_lo
	v_add_co_u32 v9, vcc_lo, v10, v9
	v_add_co_ci_u32_e32 v9, vcc_lo, v11, v13, vcc_lo
	v_add_co_ci_u32_e32 v10, vcc_lo, 0, v14, vcc_lo
	v_add_co_u32 v8, vcc_lo, v9, v8
	v_add_co_ci_u32_e32 v9, vcc_lo, 0, v10, vcc_lo
	v_add_co_u32 v4, vcc_lo, v4, v8
	v_add_co_ci_u32_e32 v11, vcc_lo, v7, v9, vcc_lo
	v_mul_hi_u32 v13, v5, v4
	v_mad_u64_u32 v[9:10], null, v6, v4, 0
	v_mad_u64_u32 v[7:8], null, v5, v11, 0
	;; [unrolled: 1-line block ×3, first 2 shown]
	v_add_co_u32 v4, vcc_lo, v13, v7
	v_add_co_ci_u32_e32 v7, vcc_lo, 0, v8, vcc_lo
	v_add_co_u32 v4, vcc_lo, v4, v9
	v_add_co_ci_u32_e32 v4, vcc_lo, v7, v10, vcc_lo
	v_add_co_ci_u32_e32 v7, vcc_lo, 0, v12, vcc_lo
	v_add_co_u32 v4, vcc_lo, v4, v11
	v_add_co_ci_u32_e32 v9, vcc_lo, 0, v7, vcc_lo
	v_mul_lo_u32 v10, s21, v4
	v_mad_u64_u32 v[7:8], null, s20, v4, 0
	v_mul_lo_u32 v11, s20, v9
	v_sub_co_u32 v7, vcc_lo, v5, v7
	v_add3_u32 v8, v8, v11, v10
	v_sub_nc_u32_e32 v10, v6, v8
	v_subrev_co_ci_u32_e64 v10, s0, s21, v10, vcc_lo
	v_add_co_u32 v11, s0, v4, 2
	v_add_co_ci_u32_e64 v12, s0, 0, v9, s0
	v_sub_co_u32 v13, s0, v7, s20
	v_sub_co_ci_u32_e32 v8, vcc_lo, v6, v8, vcc_lo
	v_subrev_co_ci_u32_e64 v10, s0, 0, v10, s0
	v_cmp_le_u32_e32 vcc_lo, s20, v13
	v_cmp_eq_u32_e64 s0, s21, v8
	v_cndmask_b32_e64 v13, 0, -1, vcc_lo
	v_cmp_le_u32_e32 vcc_lo, s21, v10
	v_cndmask_b32_e64 v14, 0, -1, vcc_lo
	v_cmp_le_u32_e32 vcc_lo, s20, v7
	;; [unrolled: 2-line block ×3, first 2 shown]
	v_cndmask_b32_e64 v15, 0, -1, vcc_lo
	v_cmp_eq_u32_e32 vcc_lo, s21, v10
	v_cndmask_b32_e64 v7, v15, v7, s0
	v_cndmask_b32_e32 v10, v14, v13, vcc_lo
	v_add_co_u32 v13, vcc_lo, v4, 1
	v_add_co_ci_u32_e32 v14, vcc_lo, 0, v9, vcc_lo
	v_cmp_ne_u32_e32 vcc_lo, 0, v10
	v_cndmask_b32_e32 v8, v14, v12, vcc_lo
	v_cndmask_b32_e32 v10, v13, v11, vcc_lo
	v_cmp_ne_u32_e32 vcc_lo, 0, v7
	v_cndmask_b32_e32 v8, v9, v8, vcc_lo
	v_cndmask_b32_e32 v7, v4, v10, vcc_lo
.LBB0_4:                                ;   in Loop: Header=BB0_2 Depth=1
	s_andn2_saveexec_b32 s0, s1
	s_cbranch_execz .LBB0_6
; %bb.5:                                ;   in Loop: Header=BB0_2 Depth=1
	v_cvt_f32_u32_e32 v4, s20
	s_sub_i32 s1, 0, s20
	v_rcp_iflag_f32_e32 v4, v4
	v_mul_f32_e32 v4, 0x4f7ffffe, v4
	v_cvt_u32_f32_e32 v4, v4
	v_mul_lo_u32 v7, s1, v4
	v_mul_hi_u32 v7, v4, v7
	v_add_nc_u32_e32 v4, v4, v7
	v_mul_hi_u32 v4, v5, v4
	v_mul_lo_u32 v7, v4, s20
	v_add_nc_u32_e32 v8, 1, v4
	v_sub_nc_u32_e32 v7, v5, v7
	v_subrev_nc_u32_e32 v9, s20, v7
	v_cmp_le_u32_e32 vcc_lo, s20, v7
	v_cndmask_b32_e32 v7, v7, v9, vcc_lo
	v_cndmask_b32_e32 v4, v4, v8, vcc_lo
	v_cmp_le_u32_e32 vcc_lo, s20, v7
	v_add_nc_u32_e32 v8, 1, v4
	v_cndmask_b32_e32 v7, v4, v8, vcc_lo
	v_mov_b32_e32 v8, v3
.LBB0_6:                                ;   in Loop: Header=BB0_2 Depth=1
	s_or_b32 exec_lo, exec_lo, s0
	s_load_dwordx2 s[0:1], s[6:7], 0x0
	v_mul_lo_u32 v4, v8, s20
	v_mul_lo_u32 v11, v7, s21
	v_mad_u64_u32 v[9:10], null, v7, s20, 0
	s_add_u32 s18, s18, 1
	s_addc_u32 s19, s19, 0
	s_add_u32 s6, s6, 8
	s_addc_u32 s7, s7, 0
	;; [unrolled: 2-line block ×3, first 2 shown]
	v_add3_u32 v4, v10, v11, v4
	v_sub_co_u32 v5, vcc_lo, v5, v9
	v_sub_co_ci_u32_e32 v4, vcc_lo, v6, v4, vcc_lo
	s_waitcnt lgkmcnt(0)
	v_mul_lo_u32 v6, s1, v5
	v_mul_lo_u32 v4, s0, v4
	v_mad_u64_u32 v[1:2], null, s0, v5, v[1:2]
	v_cmp_ge_u64_e64 s0, s[18:19], s[10:11]
	s_and_b32 vcc_lo, exec_lo, s0
	v_add3_u32 v2, v6, v2, v4
	s_cbranch_vccnz .LBB0_9
; %bb.7:                                ;   in Loop: Header=BB0_2 Depth=1
	v_mov_b32_e32 v5, v7
	v_mov_b32_e32 v6, v8
	s_branch .LBB0_2
.LBB0_8:
	v_mov_b32_e32 v8, v6
	v_mov_b32_e32 v7, v5
.LBB0_9:
	s_lshl_b64 s[0:1], s[10:11], 3
	v_mul_hi_u32 v3, 0x4924925, v0
	s_add_u32 s0, s14, s0
	s_addc_u32 s1, s15, s1
	s_load_dwordx2 s[4:5], s[4:5], 0x20
	s_load_dwordx2 s[0:1], s[0:1], 0x0
                                        ; implicit-def: $vgpr16
                                        ; implicit-def: $vgpr22
                                        ; implicit-def: $vgpr48
                                        ; implicit-def: $vgpr47
                                        ; implicit-def: $vgpr46
                                        ; implicit-def: $vgpr45
                                        ; implicit-def: $vgpr44
                                        ; implicit-def: $vgpr43
	v_mul_u32_u24_e32 v3, 56, v3
	v_sub_nc_u32_e32 v4, v0, v3
	v_add_nc_u32_e32 v11, 56, v4
	v_add_nc_u32_e32 v9, 0x70, v4
	;; [unrolled: 1-line block ×5, first 2 shown]
	s_waitcnt lgkmcnt(0)
	v_cmp_gt_u64_e32 vcc_lo, s[4:5], v[7:8]
	v_mul_lo_u32 v14, s0, v8
	v_mul_lo_u32 v15, s1, v7
	v_mad_u64_u32 v[0:1], null, s0, v7, v[1:2]
	v_cmp_le_u64_e64 s0, s[4:5], v[7:8]
	v_add_nc_u32_e32 v10, 0x150, v4
	v_add_nc_u32_e32 v6, 0x188, v4
	v_or_b32_e32 v2, 0x1c0, v4
	v_add_nc_u32_e32 v17, 0x1f8, v4
	v_add_nc_u32_e32 v12, 0x230, v4
	v_add3_u32 v1, v15, v1, v14
	v_add_nc_u32_e32 v7, 0x268, v4
                                        ; implicit-def: $sgpr4
                                        ; implicit-def: $vgpr14
                                        ; implicit-def: $vgpr15
	s_and_saveexec_b32 s1, s0
	s_xor_b32 s0, exec_lo, s1
	s_cbranch_execz .LBB0_11
; %bb.10:
	v_add_nc_u32_e32 v14, 56, v4
	v_add_nc_u32_e32 v15, 0x70, v4
	v_add_nc_u32_e32 v16, 0xa8, v4
	v_add_nc_u32_e32 v22, 0xe0, v4
	v_add_nc_u32_e32 v48, 0x118, v4
	v_add_nc_u32_e32 v47, 0x150, v4
	v_add_nc_u32_e32 v46, 0x188, v4
	v_or_b32_e32 v45, 0x1c0, v4
	v_add_nc_u32_e32 v17, 0x1f8, v4
	v_add_nc_u32_e32 v44, 0x230, v4
	;; [unrolled: 1-line block ×3, first 2 shown]
	s_mov_b32 s4, 0
.LBB0_11:
	s_or_saveexec_b32 s1, s0
	v_lshlrev_b64 v[0:1], 2, v[0:1]
	v_mov_b32_e32 v23, s4
	v_mov_b32_e32 v49, s4
                                        ; implicit-def: $vgpr32
                                        ; implicit-def: $vgpr8
                                        ; implicit-def: $vgpr36
                                        ; implicit-def: $vgpr20
                                        ; implicit-def: $vgpr35
                                        ; implicit-def: $vgpr18
                                        ; implicit-def: $vgpr40
                                        ; implicit-def: $vgpr24
                                        ; implicit-def: $vgpr38
                                        ; implicit-def: $vgpr21
                                        ; implicit-def: $vgpr54
                                        ; implicit-def: $vgpr25
                                        ; implicit-def: $vgpr37
                                        ; implicit-def: $vgpr19
                                        ; implicit-def: $vgpr55
                                        ; implicit-def: $vgpr26
                                        ; implicit-def: $vgpr53
                                        ; implicit-def: $vgpr27
                                        ; implicit-def: $vgpr57
                                        ; implicit-def: $vgpr30
                                        ; implicit-def: $vgpr56
                                        ; implicit-def: $vgpr28
                                        ; implicit-def: $vgpr59
                                        ; implicit-def: $vgpr31
                                        ; implicit-def: $vgpr58
                                        ; implicit-def: $vgpr29
                                        ; implicit-def: $vgpr73
                                        ; implicit-def: $vgpr39
                                        ; implicit-def: $vgpr72
                                        ; implicit-def: $vgpr33
                                        ; implicit-def: $vgpr75
                                        ; implicit-def: $vgpr41
                                        ; implicit-def: $vgpr71
                                        ; implicit-def: $vgpr42
                                        ; implicit-def: $vgpr77
                                        ; implicit-def: $vgpr52
                                        ; implicit-def: $vgpr74
                                        ; implicit-def: $vgpr50
                                        ; implicit-def: $vgpr79
                                        ; implicit-def: $vgpr61
                                        ; implicit-def: $vgpr78
                                        ; implicit-def: $vgpr51
                                        ; implicit-def: $vgpr81
                                        ; implicit-def: $vgpr62
                                        ; implicit-def: $vgpr80
                                        ; implicit-def: $vgpr60
                                        ; implicit-def: $vgpr82
                                        ; implicit-def: $vgpr63
                                        ; implicit-def: $vgpr34
                                        ; implicit-def: $vgpr64
	s_xor_b32 exec_lo, exec_lo, s1
	s_cbranch_execz .LBB0_15
; %bb.12:
	v_mad_u64_u32 v[14:15], null, s2, v4, 0
	v_add_nc_u32_e32 v22, 0x2bc, v4
	v_mad_u64_u32 v[20:21], null, s2, v11, 0
	s_mov_b32 s4, exec_lo
                                        ; implicit-def: $vgpr64
	v_mad_u64_u32 v[18:19], null, s2, v22, 0
	v_mov_b32_e32 v8, v15
	v_mad_u64_u32 v[15:16], null, s3, v4, v[8:9]
	v_mov_b32_e32 v8, v19
	v_add_nc_u32_e32 v16, 0x2f4, v4
	v_mad_u64_u32 v[22:23], null, s3, v22, v[8:9]
	v_mov_b32_e32 v8, v21
	v_mad_u64_u32 v[23:24], null, s2, v16, 0
	v_mad_u64_u32 v[25:26], null, s3, v11, v[8:9]
	v_lshlrev_b64 v[26:27], 2, v[14:15]
	v_add_co_u32 v14, s0, s12, v0
	v_add_co_ci_u32_e64 v15, s0, s13, v1, s0
	v_mov_b32_e32 v8, v24
	v_mov_b32_e32 v21, v25
	v_add_co_u32 v25, s0, v14, v26
	v_add_co_ci_u32_e64 v26, s0, v15, v27, s0
	v_mad_u64_u32 v[27:28], null, s2, v9, 0
	v_mad_u64_u32 v[29:30], null, s3, v16, v[8:9]
	v_mov_b32_e32 v19, v22
	v_add_nc_u32_e32 v16, 0x32c, v4
	v_lshlrev_b64 v[20:21], 2, v[20:21]
	v_mov_b32_e32 v8, v28
	v_lshlrev_b64 v[18:19], 2, v[18:19]
	v_mov_b32_e32 v24, v29
	v_mad_u64_u32 v[29:30], null, s2, v16, 0
	v_mad_u64_u32 v[31:32], null, s3, v9, v[8:9]
	v_add_co_u32 v18, s0, v14, v18
	v_add_co_ci_u32_e64 v19, s0, v15, v19, s0
	v_mad_u64_u32 v[32:33], null, s2, v5, 0
	v_add_co_u32 v34, s0, v14, v20
	v_mov_b32_e32 v8, v30
	v_add_co_ci_u32_e64 v35, s0, v15, v21, s0
	v_lshlrev_b64 v[20:21], 2, v[23:24]
	v_mov_b32_e32 v28, v31
	v_add_nc_u32_e32 v31, 0x364, v4
	v_mad_u64_u32 v[22:23], null, s3, v16, v[8:9]
	v_mov_b32_e32 v8, v33
	v_add_co_u32 v36, s0, v14, v20
	v_mad_u64_u32 v[23:24], null, s2, v31, 0
	v_add_co_ci_u32_e64 v37, s0, v15, v21, s0
	v_lshlrev_b64 v[20:21], 2, v[27:28]
	v_mad_u64_u32 v[27:28], null, s3, v5, v[8:9]
	v_mov_b32_e32 v30, v22
	v_mov_b32_e32 v8, v24
	v_add_nc_u32_e32 v16, 0x39c, v4
	v_add_co_u32 v38, s0, v14, v20
	v_add_co_ci_u32_e64 v39, s0, v15, v21, s0
	v_lshlrev_b64 v[20:21], 2, v[29:30]
	v_mov_b32_e32 v33, v27
	v_mad_u64_u32 v[27:28], null, s3, v31, v[8:9]
	v_mad_u64_u32 v[28:29], null, s2, v3, 0
	v_add_co_u32 v30, s0, v14, v20
	v_add_co_ci_u32_e64 v31, s0, v15, v21, s0
	v_lshlrev_b64 v[20:21], 2, v[32:33]
	v_mad_u64_u32 v[32:33], null, s2, v16, 0
	v_mov_b32_e32 v8, v29
	v_mov_b32_e32 v24, v27
	v_mad_u64_u32 v[40:41], null, s3, v3, v[8:9]
	v_mov_b32_e32 v8, v33
	v_lshlrev_b64 v[22:23], 2, v[23:24]
	v_add_co_u32 v41, s0, v14, v20
	v_add_co_ci_u32_e64 v42, s0, v15, v21, s0
	v_mad_u64_u32 v[43:44], null, s3, v16, v[8:9]
	v_mad_u64_u32 v[44:45], null, s2, v13, 0
	v_mov_b32_e32 v29, v40
	v_add_nc_u32_e32 v40, 0x3d4, v4
	v_add_co_u32 v22, s0, v14, v22
	v_add_co_ci_u32_e64 v23, s0, v15, v23, s0
	s_clause 0x7
	global_load_dword v8, v[25:26], off
	global_load_dword v20, v[18:19], off
	;; [unrolled: 1-line block ×8, first 2 shown]
	v_mov_b32_e32 v16, v45
	v_lshlrev_b64 v[22:23], 2, v[28:29]
	v_mad_u64_u32 v[27:28], null, s2, v40, 0
	v_mov_b32_e32 v33, v43
	v_mad_u64_u32 v[29:30], null, s3, v13, v[16:17]
	v_add_co_u32 v22, s0, v14, v22
	v_lshlrev_b64 v[30:31], 2, v[32:33]
	v_mov_b32_e32 v16, v28
	v_mad_u64_u32 v[32:33], null, s2, v10, 0
	v_add_co_ci_u32_e64 v23, s0, v15, v23, s0
	v_mov_b32_e32 v45, v29
	v_mad_u64_u32 v[28:29], null, s3, v40, v[16:17]
	v_add_co_u32 v29, s0, v14, v30
	v_add_co_ci_u32_e64 v30, s0, v15, v31, s0
	v_add_nc_u32_e32 v31, 0x40c, v4
	v_mov_b32_e32 v16, v33
	v_lshlrev_b64 v[34:35], 2, v[44:45]
	v_add_nc_u32_e32 v45, 0x444, v4
	v_lshlrev_b64 v[27:28], 2, v[27:28]
	v_mad_u64_u32 v[36:37], null, s2, v31, 0
	v_mad_u64_u32 v[38:39], null, s3, v10, v[16:17]
	;; [unrolled: 1-line block ×3, first 2 shown]
	v_add_co_u32 v34, s0, v14, v34
	v_mov_b32_e32 v16, v37
	v_mad_u64_u32 v[41:42], null, s2, v45, 0
	v_mov_b32_e32 v33, v38
	v_add_co_ci_u32_e64 v35, s0, v15, v35, s0
	v_mad_u64_u32 v[37:38], null, s3, v31, v[16:17]
	v_mov_b32_e32 v16, v40
	v_add_co_u32 v43, s0, v14, v27
	v_add_co_ci_u32_e64 v44, s0, v15, v28, s0
	v_lshlrev_b64 v[27:28], 2, v[32:33]
	v_mad_u64_u32 v[31:32], null, s3, v6, v[16:17]
	v_mov_b32_e32 v16, v42
	v_add_co_u32 v32, s0, v14, v27
	v_add_co_ci_u32_e64 v33, s0, v15, v28, s0
	v_lshlrev_b64 v[27:28], 2, v[36:37]
	v_mad_u64_u32 v[36:37], null, s3, v45, v[16:17]
	v_mov_b32_e32 v40, v31
	v_mad_u64_u32 v[37:38], null, s2, v2, 0
	v_add_nc_u32_e32 v31, 0x47c, v4
	v_add_co_u32 v45, s0, v14, v27
	v_mov_b32_e32 v42, v36
	v_add_co_ci_u32_e64 v46, s0, v15, v28, s0
	v_mad_u64_u32 v[47:48], null, s2, v31, 0
	v_mov_b32_e32 v16, v38
	v_lshlrev_b64 v[27:28], 2, v[39:40]
	v_lshlrev_b64 v[38:39], 2, v[41:42]
	v_mad_u64_u32 v[40:41], null, s3, v2, v[16:17]
	v_mov_b32_e32 v16, v48
	v_add_co_u32 v41, s0, v14, v27
	v_add_co_ci_u32_e64 v42, s0, v15, v28, s0
	v_mad_u64_u32 v[50:51], null, s3, v31, v[16:17]
	v_mad_u64_u32 v[51:52], null, s2, v17, 0
	v_add_co_u32 v48, s0, v14, v38
	v_add_co_ci_u32_e64 v49, s0, v15, v39, s0
	s_clause 0x7
	global_load_dword v27, v[22:23], off
	global_load_dword v30, v[29:30], off
	;; [unrolled: 1-line block ×8, first 2 shown]
	v_add_nc_u32_e32 v32, 0x4b4, v4
	v_mov_b32_e32 v38, v40
	v_mov_b32_e32 v16, v52
	v_add_nc_u32_e32 v40, 0x4ec, v4
	v_mov_b32_e32 v48, v50
	v_mad_u64_u32 v[34:35], null, s2, v32, 0
	v_lshlrev_b64 v[22:23], 2, v[37:38]
	v_mad_u64_u32 v[36:37], null, s3, v17, v[16:17]
	v_mad_u64_u32 v[37:38], null, s2, v12, 0
	;; [unrolled: 1-line block ×3, first 2 shown]
	v_mov_b32_e32 v16, v35
	v_lshlrev_b64 v[42:43], 2, v[47:48]
	v_mov_b32_e32 v52, v36
	v_add_co_u32 v22, s0, v14, v22
	v_mad_u64_u32 v[35:36], null, s3, v32, v[16:17]
	v_mov_b32_e32 v16, v38
	v_add_nc_u32_e32 v32, 0x524, v4
	v_add_co_ci_u32_e64 v23, s0, v15, v23, s0
	v_add_co_u32 v46, s0, v14, v42
	v_mad_u64_u32 v[48:49], null, s3, v12, v[16:17]
	v_mov_b32_e32 v16, v45
	v_mad_u64_u32 v[49:50], null, s2, v7, 0
	v_add_co_ci_u32_e64 v47, s0, v15, v43, s0
	v_lshlrev_b64 v[42:43], 2, v[51:52]
	v_mad_u64_u32 v[51:52], null, s3, v40, v[16:17]
	v_mad_u64_u32 v[52:53], null, s2, v32, 0
	v_mov_b32_e32 v16, v50
	v_add_co_u32 v54, s0, v14, v42
	v_add_co_ci_u32_e64 v55, s0, v15, v43, s0
	v_mad_u64_u32 v[42:43], null, s3, v7, v[16:17]
	v_mov_b32_e32 v16, v53
	v_mov_b32_e32 v38, v48
	v_lshlrev_b64 v[34:35], 2, v[34:35]
	v_mov_b32_e32 v45, v51
	v_mad_u64_u32 v[56:57], null, s3, v32, v[16:17]
	v_lshlrev_b64 v[36:37], 2, v[37:38]
	v_mov_b32_e32 v50, v42
	v_add_co_u32 v34, s0, v14, v34
	v_lshlrev_b64 v[43:44], 2, v[44:45]
	v_add_co_ci_u32_e64 v35, s0, v15, v35, s0
	v_mov_b32_e32 v53, v56
	v_add_co_u32 v36, s0, v14, v36
	v_lshlrev_b64 v[48:49], 2, v[49:50]
	v_add_co_ci_u32_e64 v37, s0, v15, v37, s0
	v_add_co_u32 v43, s0, v14, v43
	v_lshlrev_b64 v[50:51], 2, v[52:53]
	v_add_co_ci_u32_e64 v44, s0, v15, v44, s0
	v_add_co_u32 v48, s0, v14, v48
	v_add_co_ci_u32_e64 v49, s0, v15, v49, s0
	v_add_co_u32 v56, s0, v14, v50
	v_add_co_ci_u32_e64 v57, s0, v15, v51, s0
	s_clause 0x7
	global_load_dword v42, v[22:23], off
	global_load_dword v52, v[46:47], off
	;; [unrolled: 1-line block ×8, first 2 shown]
	v_mov_b32_e32 v49, 0
	v_mov_b32_e32 v23, 0
                                        ; implicit-def: $vgpr34
	v_cmpx_gt_u32_e32 28, v4
	s_cbranch_execz .LBB0_14
; %bb.13:
	v_or_b32_e32 v32, 0x2a0, v4
	v_add_nc_u32_e32 v37, 0x55c, v4
	v_mad_u64_u32 v[22:23], null, s2, v32, 0
	v_mad_u64_u32 v[34:35], null, s2, v37, 0
	v_mov_b32_e32 v16, v23
	v_mov_b32_e32 v23, v35
	v_mad_u64_u32 v[35:36], null, s3, v32, v[16:17]
	s_waitcnt vmcnt(20)
	v_mad_u64_u32 v[36:37], null, s3, v37, v[23:24]
	v_mov_b32_e32 v23, v35
	v_mov_b32_e32 v35, v36
	v_lshlrev_b64 v[22:23], 2, v[22:23]
	v_lshlrev_b64 v[34:35], 2, v[34:35]
	v_add_co_u32 v22, s0, v14, v22
	v_add_co_ci_u32_e64 v23, s0, v15, v23, s0
	v_add_co_u32 v14, s0, v14, v34
	v_add_co_ci_u32_e64 v15, s0, v15, v35, s0
	s_clause 0x1
	global_load_dword v49, v[22:23], off
	global_load_dword v64, v[14:15], off
	s_waitcnt vmcnt(1)
	v_lshrrev_b32_e32 v23, 16, v49
	s_waitcnt vmcnt(0)
	v_lshrrev_b32_e32 v34, 16, v64
.LBB0_14:
	s_or_b32 exec_lo, exec_lo, s4
	s_waitcnt vmcnt(23)
	v_lshrrev_b32_e32 v32, 16, v8
	s_waitcnt vmcnt(22)
	v_lshrrev_b32_e32 v36, 16, v20
	;; [unrolled: 2-line block ×24, first 2 shown]
	v_mov_b32_e32 v43, v7
	v_mov_b32_e32 v44, v12
	;; [unrolled: 1-line block ×10, first 2 shown]
.LBB0_15:
	s_or_b32 exec_lo, exec_lo, s1
	v_sub_f16_e32 v20, v8, v20
	v_sub_f16_e32 v24, v18, v24
	;; [unrolled: 1-line block ×5, first 2 shown]
	v_fma_f16 v8, v8, 2.0, -v20
	v_sub_f16_e32 v31, v28, v31
	v_fma_f16 v18, v18, 2.0, -v24
	v_fma_f16 v21, v21, 2.0, -v25
	;; [unrolled: 1-line block ×4, first 2 shown]
	v_sub_f16_e32 v39, v29, v39
	v_fma_f16 v28, v28, 2.0, -v31
	v_lshl_add_u32 v92, v4, 2, 0
	v_pack_b32_f16 v8, v8, v20
	v_lshl_add_u32 v93, v14, 2, 0
	v_pack_b32_f16 v18, v18, v24
	v_sub_f16_e32 v41, v33, v41
	v_lshl_add_u32 v89, v15, 2, 0
	v_pack_b32_f16 v20, v21, v25
	v_lshl_add_u32 v90, v16, 2, 0
	v_pack_b32_f16 v19, v19, v26
	;; [unrolled: 2-line block ×3, first 2 shown]
	v_fma_f16 v29, v29, 2.0, -v39
	v_sub_f16_e32 v52, v42, v52
	ds_write_b32 v92, v8
	ds_write_b32 v93, v18
	;; [unrolled: 1-line block ×5, first 2 shown]
	v_lshl_add_u32 v83, v48, 2, 0
	v_pack_b32_f16 v8, v28, v31
	v_sub_f16_e32 v61, v50, v61
	v_fma_f16 v65, v33, 2.0, -v41
	v_sub_f16_e32 v62, v51, v62
	v_sub_f16_e32 v63, v60, v63
	;; [unrolled: 1-line block ×3, first 2 shown]
	v_fma_f16 v64, v42, 2.0, -v52
	v_lshl_add_u32 v85, v47, 2, 0
	v_pack_b32_f16 v18, v29, v39
	ds_write_b32 v83, v8
	v_add_nc_u32_e32 v8, 0x2a0, v4
	v_fma_f16 v50, v50, 2.0, -v61
	v_fma_f16 v51, v51, 2.0, -v62
	v_lshl_add_u32 v24, v46, 2, 0
	v_pack_b32_f16 v19, v65, v41
	v_fma_f16 v60, v60, 2.0, -v63
	v_fma_f16 v42, v49, 2.0, -v33
	v_lshlrev_b32_e32 v25, 1, v48
	v_lshlrev_b32_e32 v30, 1, v47
	ds_write_b32 v85, v18
	v_lshlrev_b32_e32 v29, 1, v46
	v_lshlrev_b32_e32 v26, 1, v45
	v_lshl_add_u32 v84, v45, 2, 0
	v_pack_b32_f16 v18, v64, v52
	v_lshlrev_b32_e32 v27, 1, v17
	v_lshl_add_u32 v86, v17, 2, 0
	v_lshlrev_b32_e32 v28, 1, v44
	v_lshl_add_u32 v87, v44, 2, 0
	;; [unrolled: 2-line block ×3, first 2 shown]
	v_cmp_gt_u32_e64 s0, 28, v4
	v_lshl_add_u32 v94, v8, 2, 0
	v_pack_b32_f16 v17, v50, v61
	ds_write_b32 v24, v19
	v_pack_b32_f16 v19, v51, v62
	v_pack_b32_f16 v20, v60, v63
	ds_write_b32 v84, v18
	ds_write_b32 v86, v17
	;; [unrolled: 1-line block ×4, first 2 shown]
	s_and_saveexec_b32 s1, s0
	s_cbranch_execz .LBB0_17
; %bb.16:
	v_perm_b32 v17, v33, v42, 0x5040100
	ds_write_b32 v94, v17
.LBB0_17:
	s_or_b32 exec_lo, exec_lo, s1
	v_lshl_add_u32 v18, v15, 1, 0
	v_lshl_add_u32 v17, v4, 1, 0
	;; [unrolled: 1-line block ×4, first 2 shown]
	v_sub_nc_u32_e32 v52, v83, v25
	v_sub_nc_u32_e32 v65, v85, v30
	;; [unrolled: 1-line block ×7, first 2 shown]
	s_waitcnt lgkmcnt(0)
	s_barrier
	buffer_gl0_inv
	v_lshl_add_u32 v20, v14, 1, 0
	ds_read_u16 v60, v18
	ds_read_u16 v61, v19
	;; [unrolled: 1-line block ×3, first 2 shown]
	ds_read_u16 v51, v17 offset:1400
	ds_read_u16 v49, v17 offset:1512
	;; [unrolled: 1-line block ×11, first 2 shown]
	ds_read_u16 v63, v21
	ds_read_u16 v64, v52
	;; [unrolled: 1-line block ×9, first 2 shown]
	ds_read_u16 v52, v17 offset:2632
	s_and_saveexec_b32 s1, s0
	s_cbranch_execz .LBB0_19
; %bb.18:
	ds_read_u16 v42, v17 offset:1344
	ds_read_u16 v33, v17 offset:2744
.LBB0_19:
	s_or_b32 exec_lo, exec_lo, s1
	v_sub_f16_e32 v98, v32, v36
	v_sub_f16_e32 v99, v35, v40
	v_sub_f16_e32 v100, v38, v54
	v_sub_f16_e32 v101, v56, v59
	v_sub_f16_e32 v59, v23, v34
	v_fma_f16 v32, v32, 2.0, -v98
	v_fma_f16 v35, v35, 2.0, -v99
	v_sub_f16_e32 v55, v37, v55
	v_sub_f16_e32 v57, v53, v57
	v_sub_f16_e32 v73, v58, v73
	v_fma_f16 v38, v38, 2.0, -v100
	v_sub_f16_e32 v75, v72, v75
	v_fma_f16 v54, v23, 2.0, -v59
	v_pack_b32_f16 v23, v32, v98
	v_fma_f16 v37, v37, 2.0, -v55
	v_sub_f16_e32 v77, v71, v77
	v_pack_b32_f16 v32, v35, v99
	v_fma_f16 v53, v53, 2.0, -v57
	v_sub_f16_e32 v79, v74, v79
	v_fma_f16 v56, v56, 2.0, -v101
	v_sub_f16_e32 v81, v78, v81
	v_fma_f16 v58, v58, 2.0, -v73
	v_sub_f16_e32 v82, v80, v82
	v_fma_f16 v72, v72, 2.0, -v75
	s_waitcnt lgkmcnt(0)
	s_barrier
	buffer_gl0_inv
	ds_write_b32 v92, v23
	ds_write_b32 v93, v32
	v_pack_b32_f16 v23, v38, v100
	v_fma_f16 v34, v71, 2.0, -v77
	v_pack_b32_f16 v32, v37, v55
	v_fma_f16 v71, v74, 2.0, -v79
	;; [unrolled: 2-line block ×4, first 2 shown]
	v_pack_b32_f16 v38, v58, v73
	v_sub_nc_u32_e32 v97, 0, v25
	v_sub_nc_u32_e32 v95, 0, v30
	v_sub_nc_u32_e32 v104, 0, v29
	v_sub_nc_u32_e32 v102, 0, v26
	v_sub_nc_u32_e32 v96, 0, v27
	v_sub_nc_u32_e32 v40, 0, v28
	v_sub_nc_u32_e32 v36, 0, v31
	ds_write_b32 v89, v23
	ds_write_b32 v90, v32
	ds_write_b32 v91, v35
	ds_write_b32 v83, v37
	ds_write_b32 v85, v38
	v_pack_b32_f16 v23, v72, v75
	v_pack_b32_f16 v32, v34, v77
	;; [unrolled: 1-line block ×5, first 2 shown]
	ds_write_b32 v24, v23
	ds_write_b32 v84, v32
	;; [unrolled: 1-line block ×5, first 2 shown]
	s_and_saveexec_b32 s1, s0
	s_cbranch_execz .LBB0_21
; %bb.20:
	v_perm_b32 v23, v59, v54, 0x5040100
	ds_write_b32 v94, v23
.LBB0_21:
	s_or_b32 exec_lo, exec_lo, s1
	v_add_nc_u32_e32 v23, v83, v97
	v_add_nc_u32_e32 v53, v85, v95
	;; [unrolled: 1-line block ×4, first 2 shown]
	s_waitcnt lgkmcnt(0)
	s_barrier
	buffer_gl0_inv
	ds_read_u16 v73, v18
	ds_read_u16 v72, v19
	;; [unrolled: 1-line block ×3, first 2 shown]
	ds_read_u16 v103, v17 offset:1400
	ds_read_u16 v97, v17 offset:1512
	;; [unrolled: 1-line block ×7, first 2 shown]
	v_add_nc_u32_e32 v57, v86, v96
	v_add_nc_u32_e32 v24, v87, v40
	ds_read_u16 v104, v17 offset:2184
	ds_read_u16 v105, v17 offset:2296
	;; [unrolled: 1-line block ×4, first 2 shown]
	v_add_nc_u32_e32 v58, v88, v36
	ds_read_u16 v83, v21
	ds_read_u16 v84, v23
	;; [unrolled: 1-line block ×9, first 2 shown]
	ds_read_u16 v108, v17 offset:2632
	v_lshlrev_b32_e32 v38, 1, v4
	v_lshlrev_b32_e32 v37, 1, v14
	;; [unrolled: 1-line block ×5, first 2 shown]
	s_and_saveexec_b32 s1, s0
	s_cbranch_execz .LBB0_23
; %bb.22:
	ds_read_u16 v54, v17 offset:1344
	ds_read_u16 v59, v17 offset:2744
.LBB0_23:
	s_or_b32 exec_lo, exec_lo, s1
	v_and_b32_e32 v74, 1, v4
	v_lshlrev_b32_e32 v32, 2, v74
	v_and_or_b32 v40, 0x7c, v38, v74
	v_and_or_b32 v71, 0xfc, v37, v74
	;; [unrolled: 1-line block ×4, first 2 shown]
	global_load_dword v109, v32, s[8:9]
	v_and_or_b32 v87, 0x3fc, v34, v74
	v_and_or_b32 v88, 0x2fc, v25, v74
	;; [unrolled: 1-line block ×8, first 2 shown]
	v_lshl_add_u32 v121, v40, 1, 0
	v_lshl_add_u32 v120, v71, 1, 0
	;; [unrolled: 1-line block ×12, first 2 shown]
	v_lshlrev_b32_e32 v32, 1, v8
	s_waitcnt vmcnt(0) lgkmcnt(0)
	s_barrier
	buffer_gl0_inv
	v_mul_f16_sdwa v40, v103, v109 dst_sel:DWORD dst_unused:UNUSED_PAD src0_sel:DWORD src1_sel:WORD_1
	v_mul_f16_sdwa v102, v59, v109 dst_sel:DWORD dst_unused:UNUSED_PAD src0_sel:DWORD src1_sel:WORD_1
	;; [unrolled: 1-line block ×13, first 2 shown]
	v_fmac_f16_e32 v40, v51, v109
	v_fmac_f16_e32 v102, v33, v109
	;; [unrolled: 1-line block ×13, first 2 shown]
	v_sub_f16_e32 v122, v62, v40
	v_sub_f16_e32 v40, v42, v102
	;; [unrolled: 1-line block ×13, first 2 shown]
	v_fma_f16 v42, v42, 2.0, -v40
	v_fma_f16 v62, v62, 2.0, -v122
	;; [unrolled: 1-line block ×13, first 2 shown]
	ds_write_b16 v121, v122 offset:4
	ds_write_b16 v121, v62
	ds_write_b16 v120, v76
	ds_write_b16 v120, v71 offset:4
	ds_write_b16 v119, v60
	ds_write_b16 v119, v81 offset:4
	;; [unrolled: 2-line block ×11, first 2 shown]
	s_and_saveexec_b32 s1, s0
	s_cbranch_execz .LBB0_25
; %bb.24:
	v_and_or_b32 v60, 0x57c, v32, v74
	v_lshl_add_u32 v60, v60, 1, 0
	ds_write_b16 v60, v42
	ds_write_b16 v60, v40 offset:4
.LBB0_25:
	s_or_b32 exec_lo, exec_lo, s1
	s_waitcnt lgkmcnt(0)
	s_barrier
	buffer_gl0_inv
	ds_read_u16 v76, v18
	ds_read_u16 v81, v19
	;; [unrolled: 1-line block ×3, first 2 shown]
	ds_read_u16 v71, v17 offset:1400
	ds_read_u16 v70, v17 offset:1512
	;; [unrolled: 1-line block ×11, first 2 shown]
	ds_read_u16 v87, v21
	ds_read_u16 v88, v23
	;; [unrolled: 1-line block ×9, first 2 shown]
	ds_read_u16 v68, v17 offset:2632
	s_and_saveexec_b32 s1, s0
	s_cbranch_execz .LBB0_27
; %bb.26:
	ds_read_u16 v42, v17 offset:1344
	ds_read_u16 v40, v17 offset:2744
.LBB0_27:
	s_or_b32 exec_lo, exec_lo, s1
	v_mul_f16_sdwa v51, v51, v109 dst_sel:DWORD dst_unused:UNUSED_PAD src0_sel:DWORD src1_sel:WORD_1
	v_mul_f16_sdwa v39, v39, v109 dst_sel:DWORD dst_unused:UNUSED_PAD src0_sel:DWORD src1_sel:WORD_1
	;; [unrolled: 1-line block ×7, first 2 shown]
	v_fma_f16 v51, v103, v109, -v51
	v_mul_f16_sdwa v41, v41, v109 dst_sel:DWORD dst_unused:UNUSED_PAD src0_sel:DWORD src1_sel:WORD_1
	v_mul_f16_sdwa v50, v50, v109 dst_sel:DWORD dst_unused:UNUSED_PAD src0_sel:DWORD src1_sel:WORD_1
	;; [unrolled: 1-line block ×5, first 2 shown]
	v_fma_f16 v39, v95, v109, -v39
	v_mul_f16_sdwa v52, v52, v109 dst_sel:DWORD dst_unused:UNUSED_PAD src0_sel:DWORD src1_sel:WORD_1
	v_fma_f16 v33, v59, v109, -v33
	v_fma_f16 v49, v97, v109, -v49
	;; [unrolled: 1-line block ×10, first 2 shown]
	v_sub_f16_e32 v51, v75, v51
	v_fma_f16 v52, v108, v109, -v52
	v_sub_f16_e32 v95, v85, v39
	v_sub_f16_e32 v39, v54, v33
	;; [unrolled: 1-line block ×4, first 2 shown]
	v_fma_f16 v59, v75, 2.0, -v51
	v_sub_f16_e32 v44, v72, v44
	v_sub_f16_e32 v43, v83, v43
	v_sub_f16_e32 v41, v84, v41
	v_sub_f16_e32 v50, v86, v50
	v_sub_f16_e32 v48, v77, v48
	v_sub_f16_e32 v45, v78, v45
	v_sub_f16_e32 v46, v79, v46
	v_sub_f16_e32 v52, v80, v52
	v_fma_f16 v33, v54, 2.0, -v39
	v_fma_f16 v75, v96, 2.0, -v49
	;; [unrolled: 1-line block ×12, first 2 shown]
	s_waitcnt lgkmcnt(0)
	s_barrier
	buffer_gl0_inv
	ds_write_b16 v121, v59
	ds_write_b16 v121, v51 offset:4
	ds_write_b16 v120, v75
	ds_write_b16 v120, v49 offset:4
	ds_write_b16 v119, v73
	ds_write_b16 v119, v47 offset:4
	ds_write_b16 v118, v72
	ds_write_b16 v118, v44 offset:4
	ds_write_b16 v117, v83
	ds_write_b16 v117, v43 offset:4
	ds_write_b16 v116, v84
	ds_write_b16 v116, v41 offset:4
	ds_write_b16 v115, v85
	ds_write_b16 v115, v95 offset:4
	ds_write_b16 v114, v86
	ds_write_b16 v114, v50 offset:4
	ds_write_b16 v113, v77
	ds_write_b16 v113, v48 offset:4
	ds_write_b16 v112, v78
	ds_write_b16 v112, v45 offset:4
	ds_write_b16 v111, v79
	ds_write_b16 v111, v46 offset:4
	ds_write_b16 v110, v80
	ds_write_b16 v110, v52 offset:4
	s_and_saveexec_b32 s1, s0
	s_cbranch_execz .LBB0_29
; %bb.28:
	v_and_or_b32 v41, 0x57c, v32, v74
	v_lshl_add_u32 v41, v41, 1, 0
	ds_write_b16 v41, v33
	ds_write_b16 v41, v39 offset:4
.LBB0_29:
	s_or_b32 exec_lo, exec_lo, s1
	s_waitcnt lgkmcnt(0)
	s_barrier
	buffer_gl0_inv
	ds_read_u16 v41, v18
	ds_read_u16 v43, v19
	;; [unrolled: 1-line block ×3, first 2 shown]
	ds_read_u16 v77, v17 offset:1400
	ds_read_u16 v78, v17 offset:1512
	;; [unrolled: 1-line block ×11, first 2 shown]
	ds_read_u16 v50, v21
	ds_read_u16 v51, v23
	;; [unrolled: 1-line block ×9, first 2 shown]
	ds_read_u16 v55, v17 offset:2632
	s_and_saveexec_b32 s1, s0
	s_cbranch_execz .LBB0_31
; %bb.30:
	ds_read_u16 v33, v17 offset:1344
	ds_read_u16 v39, v17 offset:2744
.LBB0_31:
	s_or_b32 exec_lo, exec_lo, s1
	v_and_b32_e32 v57, 3, v4
	v_lshlrev_b32_e32 v56, 2, v57
	v_and_or_b32 v25, 0x2f8, v25, v57
	v_and_or_b32 v26, 0x3f8, v26, v57
	;; [unrolled: 1-line block ×4, first 2 shown]
	global_load_dword v56, v56, s[8:9] offset:8
	v_and_or_b32 v38, 0x78, v38, v57
	v_and_or_b32 v37, 0xf8, v37, v57
	;; [unrolled: 1-line block ×8, first 2 shown]
	v_lshl_add_u32 v86, v25, 1, 0
	v_lshl_add_u32 v58, v26, 1, 0
	;; [unrolled: 1-line block ×12, first 2 shown]
	s_waitcnt vmcnt(0) lgkmcnt(0)
	s_barrier
	buffer_gl0_inv
	v_mul_f16_sdwa v25, v77, v56 dst_sel:DWORD dst_unused:UNUSED_PAD src0_sel:DWORD src1_sel:WORD_1
	v_mul_f16_sdwa v26, v78, v56 dst_sel:DWORD dst_unused:UNUSED_PAD src0_sel:DWORD src1_sel:WORD_1
	v_mul_f16_sdwa v27, v79, v56 dst_sel:DWORD dst_unused:UNUSED_PAD src0_sel:DWORD src1_sel:WORD_1
	v_mul_f16_sdwa v29, v80, v56 dst_sel:DWORD dst_unused:UNUSED_PAD src0_sel:DWORD src1_sel:WORD_1
	v_mul_f16_sdwa v30, v83, v56 dst_sel:DWORD dst_unused:UNUSED_PAD src0_sel:DWORD src1_sel:WORD_1
	v_mul_f16_sdwa v31, v59, v56 dst_sel:DWORD dst_unused:UNUSED_PAD src0_sel:DWORD src1_sel:WORD_1
	v_mul_f16_sdwa v35, v72, v56 dst_sel:DWORD dst_unused:UNUSED_PAD src0_sel:DWORD src1_sel:WORD_1
	v_mul_f16_sdwa v37, v73, v56 dst_sel:DWORD dst_unused:UNUSED_PAD src0_sel:DWORD src1_sel:WORD_1
	v_mul_f16_sdwa v38, v74, v56 dst_sel:DWORD dst_unused:UNUSED_PAD src0_sel:DWORD src1_sel:WORD_1
	v_mul_f16_sdwa v100, v75, v56 dst_sel:DWORD dst_unused:UNUSED_PAD src0_sel:DWORD src1_sel:WORD_1
	v_mul_f16_sdwa v101, v54, v56 dst_sel:DWORD dst_unused:UNUSED_PAD src0_sel:DWORD src1_sel:WORD_1
	v_mul_f16_sdwa v103, v55, v56 dst_sel:DWORD dst_unused:UNUSED_PAD src0_sel:DWORD src1_sel:WORD_1
	v_mul_f16_sdwa v104, v39, v56 dst_sel:DWORD dst_unused:UNUSED_PAD src0_sel:DWORD src1_sel:WORD_1
	v_fmac_f16_e32 v25, v71, v56
	v_fmac_f16_e32 v26, v70, v56
	;; [unrolled: 1-line block ×13, first 2 shown]
	v_sub_f16_e32 v105, v82, v25
	v_sub_f16_e32 v26, v102, v26
	;; [unrolled: 1-line block ×13, first 2 shown]
	v_fma_f16 v82, v82, 2.0, -v105
	v_fma_f16 v102, v102, 2.0, -v26
	;; [unrolled: 1-line block ×12, first 2 shown]
	ds_write_b16 v99, v105 offset:8
	ds_write_b16 v99, v82
	ds_write_b16 v98, v102
	ds_write_b16 v98, v26 offset:8
	ds_write_b16 v97, v76
	ds_write_b16 v97, v27 offset:8
	;; [unrolled: 2-line block ×11, first 2 shown]
	s_and_saveexec_b32 s1, s0
	s_cbranch_execz .LBB0_33
; %bb.32:
	v_and_or_b32 v26, 0x578, v32, v57
	v_fma_f16 v27, v42, 2.0, -v25
	v_lshl_add_u32 v26, v26, 1, 0
	ds_write_b16 v26, v27
	ds_write_b16 v26, v25 offset:8
.LBB0_33:
	s_or_b32 exec_lo, exec_lo, s1
	v_mul_f16_sdwa v26, v71, v56 dst_sel:DWORD dst_unused:UNUSED_PAD src0_sel:DWORD src1_sel:WORD_1
	v_mul_f16_sdwa v27, v70, v56 dst_sel:DWORD dst_unused:UNUSED_PAD src0_sel:DWORD src1_sel:WORD_1
	;; [unrolled: 1-line block ×7, first 2 shown]
	v_fma_f16 v26, v77, v56, -v26
	v_fma_f16 v27, v78, v56, -v27
	v_mul_f16_sdwa v37, v62, v56 dst_sel:DWORD dst_unused:UNUSED_PAD src0_sel:DWORD src1_sel:WORD_1
	v_mul_f16_sdwa v38, v63, v56 dst_sel:DWORD dst_unused:UNUSED_PAD src0_sel:DWORD src1_sel:WORD_1
	;; [unrolled: 1-line block ×3, first 2 shown]
	v_fma_f16 v35, v59, v56, -v35
	v_fma_f16 v59, v75, v56, -v61
	v_mul_f16_sdwa v60, v60, v56 dst_sel:DWORD dst_unused:UNUSED_PAD src0_sel:DWORD src1_sel:WORD_1
	v_mul_f16_sdwa v61, v68, v56 dst_sel:DWORD dst_unused:UNUSED_PAD src0_sel:DWORD src1_sel:WORD_1
	v_fma_f16 v29, v79, v56, -v29
	v_fma_f16 v30, v80, v56, -v30
	;; [unrolled: 1-line block ×6, first 2 shown]
	v_mul_f16_sdwa v40, v40, v56 dst_sel:DWORD dst_unused:UNUSED_PAD src0_sel:DWORD src1_sel:WORD_1
	v_sub_f16_e32 v62, v49, v26
	v_sub_f16_e32 v63, v53, v27
	v_fma_f16 v26, v54, v56, -v60
	v_fma_f16 v27, v55, v56, -v61
	;; [unrolled: 1-line block ×3, first 2 shown]
	v_sub_f16_e32 v64, v41, v29
	v_sub_f16_e32 v65, v43, v30
	;; [unrolled: 1-line block ×10, first 2 shown]
	v_fma_f16 v60, v49, 2.0, -v62
	v_fma_f16 v61, v53, 2.0, -v63
	;; [unrolled: 1-line block ×12, first 2 shown]
	v_sub_f16_e32 v26, v33, v39
	s_waitcnt lgkmcnt(0)
	s_barrier
	buffer_gl0_inv
	ds_read_u16 v45, v24
	ds_read_u16 v29, v17 offset:2352
	ds_read_u16 v30, v18
	ds_read_u16 v37, v19
	;; [unrolled: 1-line block ×3, first 2 shown]
	ds_read_u16 v51, v17 offset:672
	ds_read_u16 v47, v17 offset:784
	;; [unrolled: 1-line block ×10, first 2 shown]
	ds_read_u16 v55, v23
	ds_read_u16 v27, v21
	ds_read_u16 v53, v17 offset:1232
	ds_read_u16 v43, v17 offset:1008
	;; [unrolled: 1-line block ×6, first 2 shown]
	ds_read_u16 v39, v20
	ds_read_u16 v44, v17 offset:2688
	s_waitcnt lgkmcnt(0)
	s_barrier
	buffer_gl0_inv
	ds_write_b16 v99, v60
	ds_write_b16 v99, v62 offset:8
	ds_write_b16 v98, v61
	ds_write_b16 v98, v63 offset:8
	;; [unrolled: 2-line block ×12, first 2 shown]
	s_and_saveexec_b32 s1, s0
	s_cbranch_execz .LBB0_35
; %bb.34:
	v_and_or_b32 v28, 0x578, v32, v57
	v_fma_f16 v32, v33, 2.0, -v26
	v_lshl_add_u32 v28, v28, 1, 0
	ds_write_b16 v28, v32
	ds_write_b16 v28, v26 offset:8
.LBB0_35:
	s_or_b32 exec_lo, exec_lo, s1
	v_and_b32_e32 v57, 7, v4
	s_waitcnt lgkmcnt(0)
	s_barrier
	buffer_gl0_inv
	v_lshrrev_b32_e32 v61, 3, v14
	v_lshlrev_b32_e32 v28, 4, v57
	v_lshrrev_b32_e32 v63, 3, v16
	v_lshrrev_b32_e32 v62, 3, v15
	;; [unrolled: 1-line block ×4, first 2 shown]
	global_load_dwordx4 v[105:108], v28, s[8:9] offset:24
	ds_read_u16 v58, v24
	ds_read_u16 v59, v17 offset:2352
	ds_read_u16 v33, v18
	ds_read_u16 v32, v19
	;; [unrolled: 1-line block ×3, first 2 shown]
	ds_read_u16 v65, v17 offset:672
	ds_read_u16 v69, v17 offset:784
	;; [unrolled: 1-line block ×10, first 2 shown]
	ds_read_u16 v85, v23
	ds_read_u16 v28, v21
	ds_read_u16 v86, v17 offset:1232
	ds_read_u16 v110, v17 offset:1008
	;; [unrolled: 1-line block ×6, first 2 shown]
	ds_read_u16 v36, v20
	ds_read_u16 v113, v17 offset:2688
	v_mul_lo_u32 v61, v61, 40
	v_mul_lo_u32 v63, v63, 40
	v_mul_lo_u32 v62, v62, 40
	v_mul_lo_u32 v64, v64, 40
	v_mul_u32_u24_e32 v60, 40, v60
	s_waitcnt vmcnt(0) lgkmcnt(0)
	s_barrier
	buffer_gl0_inv
	v_or_b32_e32 v61, v61, v57
	v_or_b32_e32 v66, v63, v57
	;; [unrolled: 1-line block ×5, first 2 shown]
	v_lshl_add_u32 v63, v61, 1, 0
	v_lshl_add_u32 v61, v66, 1, 0
	;; [unrolled: 1-line block ×5, first 2 shown]
	v_cmp_gt_u32_e64 s0, 32, v4
	v_mul_f16_sdwa v98, v58, v106 dst_sel:DWORD dst_unused:UNUSED_PAD src0_sel:DWORD src1_sel:WORD_1
	v_mul_f16_sdwa v100, v93, v107 dst_sel:DWORD dst_unused:UNUSED_PAD src0_sel:DWORD src1_sel:WORD_1
	;; [unrolled: 1-line block ×22, first 2 shown]
	v_fmac_f16_e32 v98, v45, v106
	v_fmac_f16_e32 v100, v56, v107
	v_mul_f16_sdwa v94, v45, v106 dst_sel:DWORD dst_unused:UNUSED_PAD src0_sel:DWORD src1_sel:WORD_1
	v_mul_f16_sdwa v95, v56, v107 dst_sel:DWORD dst_unused:UNUSED_PAD src0_sel:DWORD src1_sel:WORD_1
	v_fmac_f16_e32 v97, v55, v105
	v_fmac_f16_e32 v101, v54, v108
	v_mul_f16_sdwa v114, v51, v105 dst_sel:DWORD dst_unused:UNUSED_PAD src0_sel:DWORD src1_sel:WORD_1
	v_mul_f16_sdwa v115, v53, v106 dst_sel:DWORD dst_unused:UNUSED_PAD src0_sel:DWORD src1_sel:WORD_1
	v_mul_f16_sdwa v116, v52, v107 dst_sel:DWORD dst_unused:UNUSED_PAD src0_sel:DWORD src1_sel:WORD_1
	v_mul_f16_sdwa v117, v29, v108 dst_sel:DWORD dst_unused:UNUSED_PAD src0_sel:DWORD src1_sel:WORD_1
	v_mul_f16_sdwa v118, v47, v105 dst_sel:DWORD dst_unused:UNUSED_PAD src0_sel:DWORD src1_sel:WORD_1
	v_mul_f16_sdwa v120, v49, v107 dst_sel:DWORD dst_unused:UNUSED_PAD src0_sel:DWORD src1_sel:WORD_1
	v_mul_f16_sdwa v121, v50, v108 dst_sel:DWORD dst_unused:UNUSED_PAD src0_sel:DWORD src1_sel:WORD_1
	v_mul_f16_sdwa v122, v31, v105 dst_sel:DWORD dst_unused:UNUSED_PAD src0_sel:DWORD src1_sel:WORD_1
	v_mul_f16_sdwa v123, v35, v106 dst_sel:DWORD dst_unused:UNUSED_PAD src0_sel:DWORD src1_sel:WORD_1
	v_mul_f16_sdwa v124, v40, v107 dst_sel:DWORD dst_unused:UNUSED_PAD src0_sel:DWORD src1_sel:WORD_1
	v_mul_f16_sdwa v125, v41, v108 dst_sel:DWORD dst_unused:UNUSED_PAD src0_sel:DWORD src1_sel:WORD_1
	v_mul_f16_sdwa v126, v43, v105 dst_sel:DWORD dst_unused:UNUSED_PAD src0_sel:DWORD src1_sel:WORD_1
	v_fmac_f16_e32 v91, v51, v105
	v_fmac_f16_e32 v89, v53, v106
	;; [unrolled: 1-line block ×10, first 2 shown]
	v_mul_f16_sdwa v119, v48, v106 dst_sel:DWORD dst_unused:UNUSED_PAD src0_sel:DWORD src1_sel:WORD_1
	v_mul_f16_sdwa v127, v46, v106 dst_sel:DWORD dst_unused:UNUSED_PAD src0_sel:DWORD src1_sel:WORD_1
	;; [unrolled: 1-line block ×4, first 2 shown]
	v_fmac_f16_e32 v83, v47, v105
	v_fmac_f16_e32 v84, v50, v108
	;; [unrolled: 1-line block ×6, first 2 shown]
	v_fma_f16 v103, v85, v105, -v57
	v_fma_f16 v99, v87, v108, -v96
	v_add_f16_e32 v31, v98, v100
	v_fma_f16 v104, v58, v106, -v94
	v_fma_f16 v102, v93, v107, -v95
	v_add_f16_e32 v43, v97, v101
	v_fma_f16 v93, v65, v105, -v114
	v_fma_f16 v94, v86, v106, -v115
	;; [unrolled: 1-line block ×12, first 2 shown]
	v_sub_f16_e32 v35, v97, v98
	v_sub_f16_e32 v42, v101, v100
	;; [unrolled: 1-line block ×4, first 2 shown]
	v_add_f16_e32 v46, v39, v91
	v_add_f16_e32 v47, v89, v90
	v_sub_f16_e32 v50, v91, v89
	v_sub_f16_e32 v51, v92, v90
	v_add_f16_e32 v52, v91, v92
	v_sub_f16_e32 v53, v89, v91
	v_sub_f16_e32 v54, v90, v92
	v_add_f16_e32 v56, v81, v82
	v_add_f16_e32 v110, v76, v78
	;; [unrolled: 1-line block ×3, first 2 shown]
	v_fma_f16 v86, v72, v106, -v119
	v_fma_f16 v72, v112, v106, -v127
	;; [unrolled: 1-line block ×4, first 2 shown]
	v_add_f16_e32 v29, v38, v97
	v_add_f16_e32 v106, v83, v84
	;; [unrolled: 1-line block ×4, first 2 shown]
	v_sub_f16_e32 v40, v103, v99
	v_sub_f16_e32 v107, v81, v83
	;; [unrolled: 1-line block ×3, first 2 shown]
	v_fma_f16 v127, -0.5, v31, v38
	v_sub_f16_e32 v41, v104, v102
	v_add_f16_e32 v109, v37, v79
	v_fmac_f16_e32 v38, -0.5, v43
	v_sub_f16_e32 v48, v93, v96
	v_sub_f16_e32 v49, v94, v95
	v_add_f16_e32 v55, v30, v83
	v_sub_f16_e32 v57, v85, v88
	v_sub_f16_e32 v59, v83, v81
	;; [unrolled: 1-line block ×9, first 2 shown]
	v_add_f16_e32 v118, v27, v68
	v_add_f16_e32 v42, v35, v42
	;; [unrolled: 1-line block ×4, first 2 shown]
	v_fma_f16 v44, -0.5, v47, v39
	v_add_f16_e32 v45, v50, v51
	v_fmac_f16_e32 v39, -0.5, v52
	v_add_f16_e32 v46, v53, v54
	v_fma_f16 v50, -0.5, v56, v30
	v_fma_f16 v54, -0.5, v110, v37
	v_fmac_f16_e32 v37, -0.5, v115
	v_sub_f16_e32 v58, v86, v87
	v_sub_f16_e32 v120, v71, v69
	;; [unrolled: 1-line block ×3, first 2 shown]
	v_add_f16_e32 v29, v29, v98
	v_fmac_f16_e32 v30, -0.5, v106
	v_fma_f16 v31, -0.5, v119, v27
	v_fmac_f16_e32 v27, -0.5, v124
	v_add_f16_e32 v52, v107, v108
	v_fmamk_f16 v108, v40, 0xbb9c, v127
	v_add_f16_e32 v53, v109, v76
	v_fmamk_f16 v109, v41, 0x3b9c, v38
	v_fmac_f16_e32 v38, 0xbb9c, v41
	v_add_f16_e32 v47, v55, v81
	v_add_f16_e32 v51, v59, v105
	;; [unrolled: 1-line block ×5, first 2 shown]
	v_fmac_f16_e32 v127, 0x3b9c, v40
	v_fmamk_f16 v113, v48, 0xbb9c, v44
	v_fmac_f16_e32 v44, 0x3b9c, v48
	v_fmamk_f16 v114, v49, 0x3b9c, v39
	;; [unrolled: 2-line block ×5, first 2 shown]
	v_fmac_f16_e32 v37, 0xbb9c, v112
	v_sub_f16_e32 v122, v68, v66
	v_sub_f16_e32 v123, v70, v67
	;; [unrolled: 1-line block ×4, first 2 shown]
	v_add_f16_e32 v107, v29, v100
	v_add_f16_e32 v110, v35, v90
	v_fmamk_f16 v116, v58, 0x3b9c, v30
	v_fmac_f16_e32 v30, 0xbb9c, v58
	v_fmamk_f16 v29, v120, 0xbb9c, v31
	v_fmac_f16_e32 v31, 0x3b9c, v120
	v_fmamk_f16 v35, v121, 0x3b9c, v27
	v_fmac_f16_e32 v27, 0xbb9c, v121
	v_fmac_f16_e32 v108, 0xb8b4, v41
	v_fmac_f16_e32 v109, 0xb8b4, v40
	;; [unrolled: 1-line block ×3, first 2 shown]
	v_add_f16_e32 v47, v47, v82
	v_add_f16_e32 v53, v53, v78
	;; [unrolled: 1-line block ×3, first 2 shown]
	v_fmac_f16_e32 v127, 0x38b4, v41
	v_fmac_f16_e32 v44, 0x38b4, v49
	;; [unrolled: 1-line block ×6, first 2 shown]
	v_add_f16_e32 v105, v122, v123
	v_add_f16_e32 v106, v125, v126
	;; [unrolled: 1-line block ×3, first 2 shown]
	v_fmac_f16_e32 v113, 0xb8b4, v49
	v_fmac_f16_e32 v114, 0xb8b4, v48
	;; [unrolled: 1-line block ×14, first 2 shown]
	v_add_f16_e32 v41, v47, v84
	v_add_f16_e32 v47, v53, v80
	;; [unrolled: 1-line block ×3, first 2 shown]
	v_fmac_f16_e32 v127, 0x34f2, v42
	v_fmac_f16_e32 v44, 0x34f2, v45
	v_fmac_f16_e32 v39, 0x34f2, v46
	v_fmac_f16_e32 v50, 0x34f2, v51
	v_fmac_f16_e32 v54, 0x34f2, v55
	v_fmac_f16_e32 v37, 0x34f2, v56
	v_add_f16_e32 v40, v110, v92
	v_fmac_f16_e32 v113, 0x34f2, v45
	v_fmac_f16_e32 v114, 0x34f2, v46
	v_fmac_f16_e32 v115, 0x34f2, v51
	v_fmac_f16_e32 v116, 0x34f2, v52
	v_fmac_f16_e32 v30, 0x34f2, v52
	v_fmac_f16_e32 v117, 0x34f2, v55
	v_fmac_f16_e32 v118, 0x34f2, v56
	v_fmac_f16_e32 v29, 0x34f2, v105
	v_fmac_f16_e32 v31, 0x34f2, v105
	v_fmac_f16_e32 v35, 0x34f2, v106
	v_fmac_f16_e32 v27, 0x34f2, v106
	ds_write_b16 v64, v107
	ds_write_b16 v64, v108 offset:16
	ds_write_b16 v64, v109 offset:32
	ds_write_b16 v64, v38 offset:48
	ds_write_b16 v64, v127 offset:64
	ds_write_b16 v63, v40
	ds_write_b16 v63, v113 offset:16
	ds_write_b16 v63, v114 offset:32
	ds_write_b16 v63, v39 offset:48
	ds_write_b16 v63, v44 offset:64
	;; [unrolled: 5-line block ×5, first 2 shown]
	s_waitcnt lgkmcnt(0)
	s_barrier
	buffer_gl0_inv
	ds_read_u16 v38, v17
	ds_read_u16 v54, v17 offset:400
	ds_read_u16 v48, v17 offset:512
	;; [unrolled: 1-line block ×7, first 2 shown]
	ds_read_u16 v37, v18
	ds_read_u16 v56, v17 offset:1200
	ds_read_u16 v43, v17 offset:1024
	;; [unrolled: 1-line block ×10, first 2 shown]
	ds_read_u16 v39, v20
	ds_read_u16 v51, v17 offset:2624
                                        ; implicit-def: $vgpr40
                                        ; implicit-def: $vgpr41
	s_and_saveexec_b32 s1, s0
	s_cbranch_execz .LBB0_37
; %bb.36:
	ds_read_u16 v35, v17 offset:736
	ds_read_u16 v27, v17 offset:1136
	;; [unrolled: 1-line block ×5, first 2 shown]
	ds_read_u16 v29, v19
	ds_read_u16 v40, v17 offset:2736
.LBB0_37:
	s_or_b32 exec_lo, exec_lo, s1
	v_add_f16_e32 v30, v104, v102
	v_add_f16_e32 v105, v34, v103
	v_sub_f16_e32 v97, v97, v101
	v_sub_f16_e32 v98, v98, v100
	;; [unrolled: 1-line block ×3, first 2 shown]
	v_fma_f16 v101, -0.5, v30, v34
	v_sub_f16_e32 v30, v99, v102
	v_add_f16_e32 v106, v103, v99
	v_sub_f16_e32 v103, v104, v103
	v_add_f16_e32 v104, v105, v104
	v_fmamk_f16 v105, v97, 0x3b9c, v101
	v_sub_f16_e32 v107, v102, v99
	v_add_f16_e32 v30, v100, v30
	v_fmac_f16_e32 v101, 0xbb9c, v97
	v_add_f16_e32 v100, v104, v102
	v_fmac_f16_e32 v105, 0x38b4, v98
	v_add_f16_e32 v104, v94, v95
	v_fmac_f16_e32 v34, -0.5, v106
	v_fmac_f16_e32 v101, 0xb8b4, v98
	v_add_f16_e32 v99, v100, v99
	v_add_f16_e32 v100, v103, v107
	;; [unrolled: 1-line block ×3, first 2 shown]
	v_fmac_f16_e32 v105, 0x34f2, v30
	v_fma_f16 v104, -0.5, v104, v36
	v_sub_f16_e32 v91, v91, v92
	v_fmac_f16_e32 v101, 0x34f2, v30
	v_add_f16_e32 v30, v103, v94
	v_fmamk_f16 v102, v98, 0xbb9c, v34
	v_fmac_f16_e32 v34, 0x3b9c, v98
	v_fmamk_f16 v92, v91, 0x3b9c, v104
	v_sub_f16_e32 v89, v89, v90
	v_sub_f16_e32 v90, v93, v94
	;; [unrolled: 1-line block ×3, first 2 shown]
	v_add_f16_e32 v103, v93, v96
	v_add_f16_e32 v30, v30, v95
	v_fmac_f16_e32 v104, 0xbb9c, v91
	v_fmac_f16_e32 v102, 0x38b4, v97
	;; [unrolled: 1-line block ×4, first 2 shown]
	v_add_f16_e32 v90, v90, v98
	v_fmac_f16_e32 v36, -0.5, v103
	v_add_f16_e32 v97, v30, v96
	v_sub_f16_e32 v30, v94, v93
	v_sub_f16_e32 v93, v95, v96
	v_fmac_f16_e32 v104, 0xb8b4, v89
	v_add_f16_e32 v94, v33, v85
	v_add_f16_e32 v95, v86, v87
	v_fmac_f16_e32 v92, 0x34f2, v90
	v_fmamk_f16 v98, v89, 0xbb9c, v36
	v_add_f16_e32 v30, v30, v93
	v_fmac_f16_e32 v36, 0x3b9c, v89
	v_add_f16_e32 v89, v94, v86
	v_fma_f16 v93, -0.5, v95, v33
	v_sub_f16_e32 v83, v83, v84
	v_fmac_f16_e32 v104, 0x34f2, v90
	v_add_f16_e32 v90, v85, v88
	v_fmac_f16_e32 v98, 0x38b4, v91
	v_fmac_f16_e32 v36, 0xb8b4, v91
	v_add_f16_e32 v84, v89, v87
	v_fmamk_f16 v89, v83, 0x3b9c, v93
	v_sub_f16_e32 v81, v81, v82
	v_sub_f16_e32 v82, v85, v86
	;; [unrolled: 1-line block ×3, first 2 shown]
	v_fmac_f16_e32 v33, -0.5, v90
	v_fmac_f16_e32 v93, 0xbb9c, v83
	v_sub_f16_e32 v85, v86, v85
	v_sub_f16_e32 v86, v87, v88
	v_add_f16_e32 v87, v74, v75
	v_fmac_f16_e32 v98, 0x34f2, v30
	v_fmac_f16_e32 v36, 0x34f2, v30
	;; [unrolled: 1-line block ×3, first 2 shown]
	v_add_f16_e32 v30, v82, v91
	v_fmamk_f16 v82, v81, 0xbb9c, v33
	v_fmac_f16_e32 v93, 0xb8b4, v81
	v_add_f16_e32 v85, v85, v86
	v_fmac_f16_e32 v33, 0x3b9c, v81
	v_add_f16_e32 v81, v32, v65
	v_fma_f16 v86, -0.5, v87, v32
	v_sub_f16_e32 v79, v79, v80
	v_fmac_f16_e32 v89, 0x34f2, v30
	v_fmac_f16_e32 v82, 0x38b4, v83
	;; [unrolled: 1-line block ×4, first 2 shown]
	v_add_f16_e32 v30, v81, v74
	v_fmamk_f16 v80, v79, 0x3b9c, v86
	v_sub_f16_e32 v76, v76, v78
	v_sub_f16_e32 v78, v65, v74
	;; [unrolled: 1-line block ×3, first 2 shown]
	v_fmac_f16_e32 v86, 0xbb9c, v79
	v_add_f16_e32 v83, v65, v77
	v_add_f16_e32 v30, v30, v75
	v_fmac_f16_e32 v80, 0x38b4, v76
	v_add_f16_e32 v78, v78, v81
	v_fmac_f16_e32 v86, 0xb8b4, v76
	v_fmac_f16_e32 v32, -0.5, v83
	v_sub_f16_e32 v74, v74, v65
	v_sub_f16_e32 v75, v75, v77
	v_add_f16_e32 v81, v30, v77
	v_fmac_f16_e32 v80, 0x34f2, v78
	v_fmac_f16_e32 v86, 0x34f2, v78
	v_fmamk_f16 v78, v76, 0xbb9c, v32
	v_add_f16_e32 v30, v72, v73
	v_fmac_f16_e32 v32, 0x3b9c, v76
	v_add_f16_e32 v76, v28, v71
	v_sub_f16_e32 v68, v68, v70
	v_add_f16_e32 v70, v74, v75
	v_add_f16_e32 v75, v71, v69
	v_fma_f16 v65, -0.5, v30, v28
	v_fmac_f16_e32 v78, 0x38b4, v79
	v_fmac_f16_e32 v32, 0xb8b4, v79
	v_add_f16_e32 v74, v76, v72
	v_sub_f16_e32 v67, v66, v67
	v_fmac_f16_e32 v28, -0.5, v75
	v_fmamk_f16 v30, v68, 0x3b9c, v65
	v_fmac_f16_e32 v78, 0x34f2, v70
	v_fmac_f16_e32 v32, 0x34f2, v70
	v_add_f16_e32 v70, v74, v73
	v_sub_f16_e32 v74, v71, v72
	v_sub_f16_e32 v75, v69, v73
	v_fmac_f16_e32 v65, 0xbb9c, v68
	v_fmamk_f16 v66, v67, 0xbb9c, v28
	v_sub_f16_e32 v71, v72, v71
	v_sub_f16_e32 v72, v73, v69
	v_fmac_f16_e32 v28, 0x3b9c, v67
	v_fmac_f16_e32 v30, 0x38b4, v67
	v_add_f16_e32 v73, v74, v75
	v_fmac_f16_e32 v65, 0xb8b4, v67
	v_fmac_f16_e32 v66, 0x38b4, v68
	v_add_f16_e32 v67, v71, v72
	v_fmac_f16_e32 v28, 0xb8b4, v68
	v_fmac_f16_e32 v102, 0x34f2, v100
	;; [unrolled: 1-line block ×3, first 2 shown]
	v_add_f16_e32 v84, v84, v88
	v_fmac_f16_e32 v82, 0x34f2, v85
	v_fmac_f16_e32 v33, 0x34f2, v85
	v_add_f16_e32 v68, v70, v69
	v_fmac_f16_e32 v30, 0x34f2, v73
	v_fmac_f16_e32 v65, 0x34f2, v73
	;; [unrolled: 1-line block ×4, first 2 shown]
	s_waitcnt lgkmcnt(0)
	s_barrier
	buffer_gl0_inv
	ds_write_b16 v64, v99
	ds_write_b16 v64, v105 offset:16
	ds_write_b16 v64, v102 offset:32
	ds_write_b16 v64, v34 offset:48
	ds_write_b16 v64, v101 offset:64
	ds_write_b16 v63, v97
	ds_write_b16 v63, v92 offset:16
	ds_write_b16 v63, v98 offset:32
	ds_write_b16 v63, v36 offset:48
	ds_write_b16 v63, v104 offset:64
	;; [unrolled: 5-line block ×5, first 2 shown]
	s_waitcnt lgkmcnt(0)
	s_barrier
	buffer_gl0_inv
	ds_read_u16 v34, v17
	ds_read_u16 v79, v17 offset:400
	ds_read_u16 v73, v17 offset:512
	;; [unrolled: 1-line block ×7, first 2 shown]
	ds_read_u16 v32, v18
	ds_read_u16 v81, v17 offset:1200
	ds_read_u16 v68, v17 offset:1024
	ds_read_u16 v82, v17 offset:800
	ds_read_u16 v74, v17 offset:624
	ds_read_u16 v78, v17 offset:2112
	ds_read_u16 v69, v17 offset:2224
	ds_read_u16 v83, v17 offset:2000
	ds_read_u16 v75, v17 offset:1824
	ds_read_u16 v84, v17 offset:1600
	ds_read_u16 v77, v17 offset:1424
	ds_read_u16 v33, v20
	ds_read_u16 v76, v17 offset:2624
                                        ; implicit-def: $vgpr36
                                        ; implicit-def: $vgpr64
	s_and_saveexec_b32 s1, s0
	s_cbranch_execz .LBB0_39
; %bb.38:
	ds_read_u16 v66, v17 offset:736
	ds_read_u16 v28, v17 offset:1136
	;; [unrolled: 1-line block ×5, first 2 shown]
	ds_read_u16 v30, v19
	ds_read_u16 v36, v17 offset:2736
.LBB0_39:
	s_or_b32 exec_lo, exec_lo, s1
	v_subrev_nc_u32_e32 v60, 40, v4
	v_cmp_gt_u32_e64 s1, 40, v4
	v_mov_b32_e32 v61, 0
	v_and_b32_e32 v63, 0xff, v14
	v_and_b32_e32 v89, 0xff, v15
	v_mov_b32_e32 v93, 6
	v_cndmask_b32_e64 v62, v60, v4, s1
	v_mov_b32_e32 v94, 1
	v_mul_lo_u16 v63, 0xcd, v63
	v_mul_lo_u16 v92, 0xcd, v89
	v_mul_i32_i24_e32 v60, 6, v62
	v_lshlrev_b32_e32 v62, 1, v62
	v_lshrrev_b16 v63, 13, v63
	v_lshlrev_b64 v[60:61], 2, v[60:61]
	v_mul_lo_u16 v91, v63, 40
	v_add_co_u32 v60, s1, s8, v60
	v_add_co_ci_u32_e64 v61, s1, s9, v61, s1
	v_cmp_lt_u32_e64 s1, 39, v4
	s_clause 0x1
	global_load_dwordx4 v[85:88], v[60:61], off offset:152
	global_load_dwordx2 v[89:90], v[60:61], off offset:168
	v_lshrrev_b16 v61, 13, v92
	v_sub_nc_u16 v60, v14, v91
	v_cndmask_b32_e64 v95, 0, 0x230, s1
	v_mul_lo_u16 v92, v61, 40
	v_mul_u32_u24_sdwa v91, v60, v93 dst_sel:DWORD dst_unused:UNUSED_PAD src0_sel:BYTE_0 src1_sel:DWORD
	v_lshlrev_b32_sdwa v60, v94, v60 dst_sel:DWORD dst_unused:UNUSED_PAD src0_sel:DWORD src1_sel:BYTE_0
	v_sub_nc_u16 v92, v15, v92
	v_lshlrev_b32_e32 v91, 2, v91
	v_mul_u32_u24_sdwa v93, v92, v93 dst_sel:DWORD dst_unused:UNUSED_PAD src0_sel:BYTE_0 src1_sel:DWORD
	global_load_dwordx4 v[103:106], v91, s[8:9] offset:152
	v_lshlrev_b32_sdwa v92, v94, v92 dst_sel:DWORD dst_unused:UNUSED_PAD src0_sel:DWORD src1_sel:BYTE_0
	v_lshlrev_b32_e32 v93, 2, v93
	s_clause 0x1
	global_load_dwordx2 v[115:116], v91, s[8:9] offset:168
	global_load_dwordx4 v[107:110], v93, s[8:9] offset:152
	v_and_b32_e32 v91, 0xff, v16
	global_load_dwordx2 v[117:118], v93, s[8:9] offset:168
	v_mul_lo_u16 v91, 0xcd, v91
	v_lshrrev_b16 v91, 13, v91
	v_mul_lo_u16 v91, v91, 40
	v_sub_nc_u16 v91, v16, v91
	v_and_b32_e32 v91, 0xff, v91
	v_mul_u32_u24_e32 v93, 6, v91
	v_lshlrev_b32_e32 v93, 2, v93
	s_clause 0x1
	global_load_dwordx4 v[111:114], v93, s[8:9] offset:152
	global_load_dwordx2 v[119:120], v93, s[8:9] offset:168
	v_mov_b32_e32 v93, 0x230
	s_waitcnt vmcnt(0) lgkmcnt(0)
	s_barrier
	buffer_gl0_inv
	v_mul_u32_u24_sdwa v96, v63, v93 dst_sel:DWORD dst_unused:UNUSED_PAD src0_sel:WORD_0 src1_sel:DWORD
	v_mul_u32_u24_sdwa v61, v61, v93 dst_sel:DWORD dst_unused:UNUSED_PAD src0_sel:WORD_0 src1_sel:DWORD
	v_add3_u32 v63, 0, v95, v62
	v_add3_u32 v62, 0, v96, v60
	;; [unrolled: 1-line block ×3, first 2 shown]
	v_lshl_add_u32 v60, v91, 1, 0
	v_mul_f16_sdwa v92, v79, v85 dst_sel:DWORD dst_unused:UNUSED_PAD src0_sel:DWORD src1_sel:WORD_1
	v_mul_f16_sdwa v97, v54, v85 dst_sel:DWORD dst_unused:UNUSED_PAD src0_sel:DWORD src1_sel:WORD_1
	;; [unrolled: 1-line block ×12, first 2 shown]
	v_fmac_f16_e32 v92, v54, v85
	v_fma_f16 v98, v79, v85, -v97
	v_fmac_f16_e32 v91, v57, v86
	v_fma_f16 v99, v82, v86, -v99
	v_fma_f16 v97, v81, v87, -v100
	;; [unrolled: 1-line block ×3, first 2 shown]
	v_fmac_f16_e32 v95, v58, v89
	v_fma_f16 v101, v83, v89, -v102
	v_fmac_f16_e32 v96, v55, v90
	v_fma_f16 v102, v80, v90, -v121
	v_mul_f16_sdwa v86, v73, v103 dst_sel:DWORD dst_unused:UNUSED_PAD src0_sel:DWORD src1_sel:WORD_1
	v_mul_f16_sdwa v54, v48, v103 dst_sel:DWORD dst_unused:UNUSED_PAD src0_sel:DWORD src1_sel:WORD_1
	;; [unrolled: 1-line block ×5, first 2 shown]
	v_fmac_f16_e32 v93, v56, v87
	v_mul_f16_sdwa v84, v76, v118 dst_sel:DWORD dst_unused:UNUSED_PAD src0_sel:DWORD src1_sel:WORD_1
	v_fmac_f16_e32 v94, v59, v88
	v_mul_f16_sdwa v55, v47, v104 dst_sel:DWORD dst_unused:UNUSED_PAD src0_sel:DWORD src1_sel:WORD_1
	v_mul_f16_sdwa v87, v71, v105 dst_sel:DWORD dst_unused:UNUSED_PAD src0_sel:DWORD src1_sel:WORD_1
	;; [unrolled: 1-line block ×17, first 2 shown]
	v_add_f16_e32 v127, v92, v96
	v_add_f16_e32 v129, v91, v95
	v_fmac_f16_e32 v86, v48, v103
	v_fma_f16 v73, v73, v103, -v54
	v_fmac_f16_e32 v85, v47, v104
	v_fmac_f16_e32 v89, v53, v115
	;; [unrolled: 1-line block ×4, first 2 shown]
	v_mul_f16_sdwa v123, v52, v109 dst_sel:DWORD dst_unused:UNUSED_PAD src0_sel:DWORD src1_sel:WORD_1
	v_sub_f16_e32 v128, v98, v102
	v_sub_f16_e32 v130, v99, v101
	v_add_f16_e32 v131, v93, v94
	v_sub_f16_e32 v132, v100, v97
	v_fma_f16 v72, v72, v104, -v55
	v_fmac_f16_e32 v87, v46, v105
	v_fma_f16 v48, v71, v105, -v56
	v_fmac_f16_e32 v88, v45, v106
	v_fma_f16 v70, v70, v106, -v57
	v_fma_f16 v71, v78, v115, -v58
	v_mul_f16_sdwa v51, v28, v112 dst_sel:DWORD dst_unused:UNUSED_PAD src0_sel:DWORD src1_sel:WORD_1
	v_mul_f16_sdwa v54, v26, v114 dst_sel:DWORD dst_unused:UNUSED_PAD src0_sel:DWORD src1_sel:WORD_1
	v_fma_f16 v67, v67, v116, -v59
	v_fmac_f16_e32 v80, v49, v107
	v_fma_f16 v45, v74, v107, -v121
	v_fmac_f16_e32 v79, v43, v108
	;; [unrolled: 2-line block ×3, first 2 shown]
	v_fmac_f16_e32 v82, v50, v110
	v_fma_f16 v46, v75, v110, -v124
	v_fmac_f16_e32 v83, v44, v117
	v_fma_f16 v44, v69, v117, -v125
	v_mul_f16_sdwa v52, v66, v111 dst_sel:DWORD dst_unused:UNUSED_PAD src0_sel:DWORD src1_sel:WORD_1
	v_mul_f16_sdwa v49, v35, v111 dst_sel:DWORD dst_unused:UNUSED_PAD src0_sel:DWORD src1_sel:WORD_1
	;; [unrolled: 1-line block ×9, first 2 shown]
	v_add_f16_e32 v75, v129, v127
	v_fmac_f16_e32 v51, v27, v112
	v_fmac_f16_e32 v54, v25, v114
	v_add_f16_e32 v25, v86, v90
	v_add_f16_e32 v27, v85, v89
	v_fma_f16 v42, v77, v109, -v123
	v_fma_f16 v47, v76, v118, -v126
	v_mul_f16_sdwa v56, v36, v120 dst_sel:DWORD dst_unused:UNUSED_PAD src0_sel:DWORD src1_sel:WORD_1
	v_sub_f16_e32 v77, v127, v131
	v_sub_f16_e32 v78, v131, v129
	v_add_f16_e32 v103, v132, v130
	v_sub_f16_e32 v104, v132, v130
	v_sub_f16_e32 v106, v130, v128
	v_fmac_f16_e32 v52, v35, v111
	v_fma_f16 v58, v66, v111, -v49
	v_fma_f16 v59, v28, v112, -v50
	v_fmac_f16_e32 v53, v31, v113
	v_fma_f16 v57, v65, v113, -v57
	v_fma_f16 v65, v26, v114, -v68
	;; [unrolled: 3-line block ×3, first 2 shown]
	v_sub_f16_e32 v26, v73, v67
	v_sub_f16_e32 v28, v72, v71
	v_add_f16_e32 v31, v87, v88
	v_sub_f16_e32 v35, v70, v48
	v_add_f16_e32 v36, v80, v84
	v_add_f16_e32 v41, v79, v83
	;; [unrolled: 1-line block ×4, first 2 shown]
	v_fmac_f16_e32 v56, v40, v120
	v_sub_f16_e32 v40, v45, v47
	v_sub_f16_e32 v49, v43, v44
	;; [unrolled: 1-line block ×5, first 2 shown]
	v_add_f16_e32 v50, v81, v82
	v_add_f16_e32 v74, v103, v128
	v_mul_f16_e32 v75, 0x3a52, v77
	v_mul_f16_e32 v77, 0x2b26, v78
	;; [unrolled: 1-line block ×4, first 2 shown]
	v_sub_f16_e32 v108, v27, v25
	v_sub_f16_e32 v25, v25, v31
	;; [unrolled: 1-line block ×3, first 2 shown]
	v_add_f16_e32 v109, v35, v28
	v_sub_f16_e32 v110, v35, v28
	v_sub_f16_e32 v28, v28, v26
	v_add_f16_e32 v111, v41, v36
	v_add_f16_e32 v38, v38, v69
	;; [unrolled: 1-line block ×4, first 2 shown]
	v_sub_f16_e32 v114, v68, v49
	v_sub_f16_e32 v49, v49, v40
	;; [unrolled: 1-line block ×6, first 2 shown]
	v_fmamk_f16 v78, v78, 0x2b26, v75
	v_fma_f16 v77, v76, 0x39e0, -v77
	v_fma_f16 v75, v76, 0xb9e0, -v75
	v_fmamk_f16 v76, v105, 0xb574, v103
	v_fma_f16 v103, v106, 0xbb00, -v103
	v_fma_f16 v104, v105, 0x3574, -v104
	v_mul_f16_e32 v25, 0x3a52, v25
	v_mul_f16_e32 v106, 0x3846, v110
	;; [unrolled: 1-line block ×3, first 2 shown]
	v_add_f16_e32 v50, v50, v111
	v_fmamk_f16 v69, v69, 0xbcab, v38
	ds_write_b16 v63, v38
	v_add_f16_e32 v38, v39, v31
	v_sub_f16_e32 v68, v40, v68
	v_mul_f16_e32 v110, 0x3846, v114
	v_mul_f16_e32 v111, 0xbb00, v49
	;; [unrolled: 1-line block ×3, first 2 shown]
	v_add_f16_e32 v26, v109, v26
	v_mul_f16_e32 v36, 0x3a52, v36
	v_mul_f16_e32 v109, 0x2b26, v41
	v_fmac_f16_e32 v76, 0xb70e, v74
	v_fmac_f16_e32 v103, 0xb70e, v74
	;; [unrolled: 1-line block ×3, first 2 shown]
	v_fmamk_f16 v27, v27, 0x2b26, v25
	v_fmamk_f16 v74, v35, 0xb574, v106
	v_fma_f16 v28, v28, 0xbb00, -v106
	v_fma_f16 v35, v35, 0x3574, -v107
	v_add_f16_e32 v37, v37, v50
	v_fmamk_f16 v31, v31, 0xbcab, v38
	v_add_f16_e32 v40, v113, v40
	v_fma_f16 v25, v108, 0xb9e0, -v25
	v_fmamk_f16 v106, v68, 0xb574, v110
	v_fma_f16 v49, v49, 0xbb00, -v110
	v_fma_f16 v68, v68, 0x3574, -v111
	v_add_f16_e32 v78, v78, v69
	v_fma_f16 v39, v108, 0x39e0, -v105
	v_add_f16_e32 v77, v77, v69
	v_add_f16_e32 v69, v75, v69
	v_fmamk_f16 v41, v41, 0x2b26, v36
	v_fma_f16 v105, v112, 0x39e0, -v109
	v_fma_f16 v36, v112, 0xb9e0, -v36
	v_fmac_f16_e32 v74, 0xb70e, v26
	v_fmac_f16_e32 v28, 0xb70e, v26
	;; [unrolled: 1-line block ×3, first 2 shown]
	v_fmamk_f16 v26, v50, 0xbcab, v37
	v_add_f16_e32 v27, v27, v31
	v_fmac_f16_e32 v106, 0xb70e, v40
	v_fmac_f16_e32 v49, 0xb70e, v40
	;; [unrolled: 1-line block ×3, first 2 shown]
	v_add_f16_e32 v40, v76, v78
	v_add_f16_e32 v25, v25, v31
	;; [unrolled: 1-line block ×4, first 2 shown]
	v_sub_f16_e32 v75, v77, v103
	v_add_f16_e32 v77, v103, v77
	v_sub_f16_e32 v69, v69, v104
	v_add_f16_e32 v31, v41, v26
	v_add_f16_e32 v41, v105, v26
	;; [unrolled: 1-line block ×4, first 2 shown]
	v_sub_f16_e32 v76, v78, v76
	ds_write_b16 v63, v40 offset:80
	ds_write_b16 v63, v50 offset:160
	;; [unrolled: 1-line block ×6, first 2 shown]
	ds_write_b16 v62, v38
	v_add_f16_e32 v38, v35, v25
	v_sub_f16_e32 v40, v39, v28
	v_add_f16_e32 v28, v28, v39
	v_sub_f16_e32 v25, v25, v35
	v_sub_f16_e32 v27, v27, v74
	v_add_f16_e32 v35, v106, v31
	v_add_f16_e32 v39, v68, v26
	v_sub_f16_e32 v50, v41, v49
	v_add_f16_e32 v41, v49, v41
	v_sub_f16_e32 v26, v26, v68
	v_sub_f16_e32 v31, v31, v106
	ds_write_b16 v62, v36 offset:80
	ds_write_b16 v62, v38 offset:160
	;; [unrolled: 1-line block ×6, first 2 shown]
	ds_write_b16 v61, v37
	ds_write_b16 v61, v35 offset:80
	ds_write_b16 v61, v39 offset:160
	;; [unrolled: 1-line block ×6, first 2 shown]
	s_and_saveexec_b32 s1, s0
	s_cbranch_execz .LBB0_41
; %bb.40:
	v_add_f16_e32 v25, v52, v56
	v_add_f16_e32 v26, v51, v55
	;; [unrolled: 1-line block ×3, first 2 shown]
	v_sub_f16_e32 v31, v65, v57
	v_sub_f16_e32 v36, v59, v64
	;; [unrolled: 1-line block ×3, first 2 shown]
	v_add_f16_e32 v35, v26, v25
	v_sub_f16_e32 v37, v25, v27
	v_sub_f16_e32 v38, v27, v26
	;; [unrolled: 1-line block ×4, first 2 shown]
	v_add_f16_e32 v27, v27, v35
	v_sub_f16_e32 v35, v31, v36
	v_add_f16_e32 v31, v31, v36
	v_sub_f16_e32 v36, v36, v28
	v_mul_f16_e32 v26, 0x3a52, v37
	v_add_f16_e32 v29, v29, v27
	v_mul_f16_e32 v35, 0x3846, v35
	v_add_f16_e32 v28, v31, v28
	v_mul_f16_e32 v37, 0xbb00, v36
	v_fmamk_f16 v31, v38, 0x2b26, v26
	v_mul_f16_e32 v38, 0x2b26, v38
	v_fmamk_f16 v27, v27, 0xbcab, v29
	v_fmamk_f16 v40, v39, 0xb574, v35
	v_fma_f16 v26, v25, 0xb9e0, -v26
	v_fma_f16 v37, v39, 0x3574, -v37
	;; [unrolled: 1-line block ×4, first 2 shown]
	v_add_f16_e32 v31, v31, v27
	v_fmac_f16_e32 v40, 0xb70e, v28
	v_add_f16_e32 v26, v26, v27
	v_fmac_f16_e32 v37, 0xb70e, v28
	v_fmac_f16_e32 v35, 0xb70e, v28
	v_add_f16_e32 v25, v25, v27
	v_sub_f16_e32 v27, v31, v40
	v_add_f16_e32 v31, v40, v31
	v_sub_f16_e32 v28, v26, v37
	;; [unrolled: 2-line block ×3, first 2 shown]
	v_add_f16_e32 v25, v35, v25
	ds_write_b16 v60, v29 offset:2240
	ds_write_b16 v60, v31 offset:2320
	;; [unrolled: 1-line block ×7, first 2 shown]
.LBB0_41:
	s_or_b32 exec_lo, exec_lo, s1
	v_add_f16_e32 v25, v98, v102
	v_add_f16_e32 v26, v99, v101
	v_sub_f16_e32 v27, v92, v96
	v_add_f16_e32 v28, v97, v100
	v_sub_f16_e32 v29, v91, v95
	v_sub_f16_e32 v31, v94, v93
	v_add_f16_e32 v35, v26, v25
	v_sub_f16_e32 v36, v26, v25
	v_sub_f16_e32 v25, v25, v28
	;; [unrolled: 1-line block ×3, first 2 shown]
	v_add_f16_e32 v37, v31, v29
	v_add_f16_e32 v28, v28, v35
	v_sub_f16_e32 v35, v31, v29
	v_sub_f16_e32 v29, v29, v27
	;; [unrolled: 1-line block ×3, first 2 shown]
	v_add_f16_e32 v27, v37, v27
	v_add_f16_e32 v68, v34, v28
	v_mul_f16_e32 v25, 0x3a52, v25
	v_mul_f16_e32 v34, 0x2b26, v26
	;; [unrolled: 1-line block ×4, first 2 shown]
	v_fmamk_f16 v28, v28, 0xbcab, v68
	v_fmamk_f16 v26, v26, 0x2b26, v25
	v_fma_f16 v34, v36, 0x39e0, -v34
	v_fma_f16 v25, v36, 0xb9e0, -v25
	v_fmamk_f16 v36, v31, 0xb574, v35
	v_fma_f16 v29, v29, 0xbb00, -v35
	v_fma_f16 v31, v31, 0x3574, -v37
	v_add_f16_e32 v26, v26, v28
	v_add_f16_e32 v34, v34, v28
	;; [unrolled: 1-line block ×3, first 2 shown]
	v_fmac_f16_e32 v36, 0xb70e, v27
	v_fmac_f16_e32 v31, 0xb70e, v27
	;; [unrolled: 1-line block ×3, first 2 shown]
	v_add_f16_e32 v27, v73, v67
	v_add_f16_e32 v28, v72, v71
	v_sub_f16_e32 v35, v85, v89
	v_sub_f16_e32 v37, v88, v87
	v_add_f16_e32 v75, v29, v34
	v_sub_f16_e32 v76, v34, v29
	v_add_f16_e32 v34, v48, v70
	v_add_f16_e32 v38, v28, v27
	v_sub_f16_e32 v29, v86, v90
	v_sub_f16_e32 v39, v28, v27
	v_add_f16_e32 v40, v37, v35
	v_sub_f16_e32 v27, v27, v34
	v_sub_f16_e32 v28, v34, v28
	;; [unrolled: 3-line block ×3, first 2 shown]
	v_sub_f16_e32 v37, v29, v37
	v_add_f16_e32 v29, v40, v29
	v_add_f16_e32 v67, v33, v34
	v_mul_f16_e32 v33, 0x2b26, v28
	v_mul_f16_e32 v38, 0x3846, v38
	;; [unrolled: 1-line block ×4, first 2 shown]
	v_fmamk_f16 v34, v34, 0xbcab, v67
	v_fma_f16 v33, v39, 0x39e0, -v33
	v_fma_f16 v35, v35, 0xbb00, -v38
	v_sub_f16_e32 v69, v26, v36
	v_sub_f16_e32 v74, v25, v31
	v_fmamk_f16 v28, v28, 0x2b26, v27
	v_fma_f16 v27, v39, 0xb9e0, -v27
	v_fmamk_f16 v39, v37, 0xb574, v38
	v_fma_f16 v37, v37, 0x3574, -v40
	v_add_f16_e32 v33, v33, v34
	v_fmac_f16_e32 v35, 0xb70e, v29
	v_add_f16_e32 v70, v31, v25
	v_add_f16_e32 v71, v36, v26
	;; [unrolled: 1-line block ×6, first 2 shown]
	v_fmac_f16_e32 v39, 0xb70e, v29
	v_fmac_f16_e32 v37, 0xb70e, v29
	v_add_f16_e32 v77, v35, v33
	v_sub_f16_e32 v78, v33, v35
	v_sub_f16_e32 v29, v80, v84
	v_add_f16_e32 v31, v42, v46
	v_sub_f16_e32 v33, v79, v83
	v_sub_f16_e32 v34, v82, v81
	;; [unrolled: 3-line block ×3, first 2 shown]
	v_sub_f16_e32 v26, v31, v26
	v_add_f16_e32 v38, v34, v33
	v_add_f16_e32 v31, v31, v35
	v_sub_f16_e32 v35, v34, v33
	v_sub_f16_e32 v33, v33, v29
	;; [unrolled: 1-line block ×3, first 2 shown]
	v_add_f16_e32 v29, v38, v29
	v_add_f16_e32 v79, v32, v31
	v_mul_f16_e32 v25, 0x3a52, v25
	v_mul_f16_e32 v32, 0x2b26, v26
	;; [unrolled: 1-line block ×4, first 2 shown]
	v_fmamk_f16 v31, v31, 0xbcab, v79
	v_fmamk_f16 v26, v26, 0x2b26, v25
	v_fma_f16 v32, v36, 0x39e0, -v32
	v_fma_f16 v25, v36, 0xb9e0, -v25
	v_fmamk_f16 v36, v34, 0xb574, v35
	v_fma_f16 v33, v33, 0xbb00, -v35
	v_fma_f16 v34, v34, 0x3574, -v38
	v_add_f16_e32 v26, v26, v31
	v_add_f16_e32 v32, v32, v31
	;; [unrolled: 1-line block ×3, first 2 shown]
	v_fmac_f16_e32 v36, 0xb70e, v29
	v_fmac_f16_e32 v34, 0xb70e, v29
	;; [unrolled: 1-line block ×3, first 2 shown]
	v_sub_f16_e32 v72, v28, v39
	v_sub_f16_e32 v73, v27, v37
	v_add_f16_e32 v80, v37, v27
	v_add_f16_e32 v81, v39, v28
	v_sub_f16_e32 v82, v26, v36
	v_sub_f16_e32 v83, v25, v34
	v_add_f16_e32 v84, v33, v32
	v_sub_f16_e32 v85, v32, v33
	v_add_f16_e32 v86, v34, v25
	v_add_f16_e32 v87, v36, v26
	s_waitcnt lgkmcnt(0)
	s_barrier
	buffer_gl0_inv
	ds_read_u16 v27, v24
	ds_read_u16 v33, v17 offset:2352
	ds_read_u16 v32, v18
	ds_read_u16 v37, v19
	;; [unrolled: 1-line block ×3, first 2 shown]
	ds_read_u16 v34, v17 offset:672
	ds_read_u16 v38, v17 offset:784
	;; [unrolled: 1-line block ×10, first 2 shown]
	ds_read_u16 v28, v23
	ds_read_u16 v42, v21
	ds_read_u16 v36, v17 offset:1232
	ds_read_u16 v47, v17 offset:1008
	;; [unrolled: 1-line block ×6, first 2 shown]
	ds_read_u16 v26, v20
	ds_read_u16 v50, v17 offset:2688
	s_waitcnt lgkmcnt(0)
	s_barrier
	buffer_gl0_inv
	ds_write_b16 v63, v68
	ds_write_b16 v63, v69 offset:80
	ds_write_b16 v63, v74 offset:160
	ds_write_b16 v63, v75 offset:240
	ds_write_b16 v63, v76 offset:320
	ds_write_b16 v63, v70 offset:400
	ds_write_b16 v63, v71 offset:480
	ds_write_b16 v62, v67
	ds_write_b16 v62, v72 offset:80
	ds_write_b16 v62, v73 offset:160
	ds_write_b16 v62, v77 offset:240
	ds_write_b16 v62, v78 offset:320
	ds_write_b16 v62, v80 offset:400
	ds_write_b16 v62, v81 offset:480
	;; [unrolled: 7-line block ×3, first 2 shown]
	s_and_saveexec_b32 s1, s0
	s_cbranch_execz .LBB0_43
; %bb.42:
	v_add_f16_e32 v58, v58, v66
	v_add_f16_e32 v59, v59, v64
	v_sub_f16_e32 v52, v52, v56
	v_add_f16_e32 v56, v57, v65
	v_sub_f16_e32 v51, v51, v55
	v_sub_f16_e32 v53, v54, v53
	v_add_f16_e32 v54, v59, v58
	v_sub_f16_e32 v55, v59, v58
	v_sub_f16_e32 v57, v58, v56
	;; [unrolled: 1-line block ×3, first 2 shown]
	v_add_f16_e32 v59, v53, v51
	v_add_f16_e32 v54, v56, v54
	v_sub_f16_e32 v56, v53, v51
	v_sub_f16_e32 v51, v51, v52
	;; [unrolled: 1-line block ×3, first 2 shown]
	v_add_f16_e32 v52, v59, v52
	v_add_f16_e32 v30, v30, v54
	v_mul_f16_e32 v57, 0x3a52, v57
	v_mul_f16_e32 v59, 0x2b26, v58
	;; [unrolled: 1-line block ×4, first 2 shown]
	v_fmamk_f16 v54, v54, 0xbcab, v30
	v_fmamk_f16 v58, v58, 0x2b26, v57
	v_fma_f16 v59, v55, 0x39e0, -v59
	v_fma_f16 v55, v55, 0xb9e0, -v57
	v_fmamk_f16 v57, v53, 0xb574, v56
	v_fma_f16 v53, v53, 0x3574, -v61
	v_fma_f16 v51, v51, 0xbb00, -v56
	v_add_f16_e32 v56, v58, v54
	v_add_f16_e32 v58, v59, v54
	v_fmac_f16_e32 v57, 0xb70e, v52
	v_add_f16_e32 v54, v55, v54
	v_fmac_f16_e32 v53, 0xb70e, v52
	v_fmac_f16_e32 v51, 0xb70e, v52
	v_sub_f16_e32 v52, v56, v57
	v_sub_f16_e32 v55, v54, v53
	v_add_f16_e32 v59, v51, v58
	v_sub_f16_e32 v51, v58, v51
	v_add_f16_e32 v53, v53, v54
	v_add_f16_e32 v54, v57, v56
	ds_write_b16 v60, v30 offset:2240
	ds_write_b16 v60, v52 offset:2320
	;; [unrolled: 1-line block ×7, first 2 shown]
.LBB0_43:
	s_or_b32 exec_lo, exec_lo, s1
	s_waitcnt lgkmcnt(0)
	s_barrier
	buffer_gl0_inv
	s_and_saveexec_b32 s0, vcc_lo
	s_cbranch_execz .LBB0_45
; %bb.44:
	v_lshlrev_b32_e32 v67, 2, v22
	v_mov_b32_e32 v68, 0
	v_lshlrev_b64 v[51:52], 2, v[67:68]
	v_lshlrev_b32_e32 v67, 2, v16
	v_lshlrev_b64 v[55:56], 2, v[67:68]
	v_lshlrev_b32_e32 v67, 2, v15
	v_add_co_u32 v51, vcc_lo, s8, v51
	v_add_co_ci_u32_e32 v52, vcc_lo, s9, v52, vcc_lo
	v_lshlrev_b64 v[15:16], 2, v[67:68]
	v_add_co_u32 v55, vcc_lo, s8, v55
	v_add_co_ci_u32_e32 v56, vcc_lo, s9, v56, vcc_lo
	v_lshlrev_b32_e32 v67, 2, v14
	v_add_co_u32 v15, vcc_lo, s8, v15
	v_add_co_ci_u32_e32 v16, vcc_lo, s9, v16, vcc_lo
	s_clause 0x2
	global_load_dwordx4 v[51:54], v[51:52], off offset:1112
	global_load_dwordx4 v[55:58], v[55:56], off offset:1112
	;; [unrolled: 1-line block ×3, first 2 shown]
	v_lshlrev_b64 v[14:15], 2, v[67:68]
	v_lshlrev_b32_e32 v67, 2, v4
	v_add_co_u32 v14, vcc_lo, s8, v14
	v_add_co_ci_u32_e32 v15, vcc_lo, s9, v15, vcc_lo
	global_load_dwordx4 v[63:66], v[14:15], off offset:1112
	v_lshlrev_b64 v[14:15], 2, v[67:68]
	v_add_co_u32 v14, vcc_lo, s8, v14
	v_add_co_ci_u32_e32 v15, vcc_lo, s9, v15, vcc_lo
	global_load_dwordx4 v[67:70], v[14:15], off offset:1112
	ds_read_u16 v14, v17 offset:1008
	ds_read_u16 v15, v17 offset:1568
	;; [unrolled: 1-line block ×3, first 2 shown]
	ds_read_u16 v71, v23
	ds_read_u16 v21, v21
	;; [unrolled: 1-line block ×5, first 2 shown]
	ds_read_u16 v18, v17 offset:2688
	ds_read_u16 v19, v17 offset:2576
	;; [unrolled: 1-line block ×6, first 2 shown]
	ds_read_u16 v75, v24
	ds_read_u16 v76, v17 offset:2352
	ds_read_u16 v77, v17 offset:2240
	;; [unrolled: 1-line block ×9, first 2 shown]
	ds_read_u16 v84, v17
	s_waitcnt vmcnt(4)
	v_mul_f16_sdwa v17, v47, v51 dst_sel:DWORD dst_unused:UNUSED_PAD src0_sel:DWORD src1_sel:WORD_1
	v_mul_f16_sdwa v85, v49, v52 dst_sel:DWORD dst_unused:UNUSED_PAD src0_sel:DWORD src1_sel:WORD_1
	;; [unrolled: 1-line block ×4, first 2 shown]
	s_waitcnt lgkmcnt(24)
	v_mul_f16_sdwa v88, v14, v51 dst_sel:DWORD dst_unused:UNUSED_PAD src0_sel:DWORD src1_sel:WORD_1
	s_waitcnt lgkmcnt(16)
	v_mul_f16_sdwa v89, v18, v54 dst_sel:DWORD dst_unused:UNUSED_PAD src0_sel:DWORD src1_sel:WORD_1
	v_mul_f16_sdwa v90, v15, v52 dst_sel:DWORD dst_unused:UNUSED_PAD src0_sel:DWORD src1_sel:WORD_1
	;; [unrolled: 1-line block ×3, first 2 shown]
	v_fma_f16 v14, v51, v14, -v17
	v_fma_f16 v85, v52, v15, -v85
	;; [unrolled: 1-line block ×4, first 2 shown]
	v_fmac_f16_e32 v88, v47, v51
	v_fmac_f16_e32 v89, v50, v54
	;; [unrolled: 1-line block ×4, first 2 shown]
	s_waitcnt vmcnt(3)
	v_mul_f16_sdwa v15, v43, v55 dst_sel:DWORD dst_unused:UNUSED_PAD src0_sel:DWORD src1_sel:WORD_1
	v_mul_f16_sdwa v16, v44, v56 dst_sel:DWORD dst_unused:UNUSED_PAD src0_sel:DWORD src1_sel:WORD_1
	;; [unrolled: 1-line block ×4, first 2 shown]
	s_waitcnt lgkmcnt(3)
	v_mul_f16_sdwa v47, v81, v55 dst_sel:DWORD dst_unused:UNUSED_PAD src0_sel:DWORD src1_sel:WORD_1
	v_mul_f16_sdwa v48, v19, v58 dst_sel:DWORD dst_unused:UNUSED_PAD src0_sel:DWORD src1_sel:WORD_1
	;; [unrolled: 1-line block ×4, first 2 shown]
	v_sub_f16_e32 v51, v14, v85
	v_sub_f16_e32 v52, v86, v87
	v_add_f16_e32 v53, v85, v87
	v_sub_f16_e32 v54, v88, v89
	v_sub_f16_e32 v93, v88, v90
	;; [unrolled: 1-line block ×3, first 2 shown]
	v_add_f16_e32 v95, v90, v91
	v_sub_f16_e32 v98, v85, v14
	v_sub_f16_e32 v99, v87, v86
	v_add_f16_e32 v100, v14, v86
	v_sub_f16_e32 v101, v90, v88
	v_sub_f16_e32 v102, v91, v89
	v_add_f16_e32 v103, v88, v89
	v_add_f16_e32 v104, v14, v21
	;; [unrolled: 1-line block ×3, first 2 shown]
	v_fma_f16 v81, v55, v81, -v15
	v_fma_f16 v23, v56, v23, -v16
	;; [unrolled: 1-line block ×4, first 2 shown]
	v_fmac_f16_e32 v47, v43, v55
	v_fmac_f16_e32 v48, v46, v58
	;; [unrolled: 1-line block ×4, first 2 shown]
	s_waitcnt vmcnt(2)
	v_mul_f16_sdwa v18, v38, v59 dst_sel:DWORD dst_unused:UNUSED_PAD src0_sel:DWORD src1_sel:WORD_1
	v_mul_f16_sdwa v19, v39, v60 dst_sel:DWORD dst_unused:UNUSED_PAD src0_sel:DWORD src1_sel:WORD_1
	;; [unrolled: 1-line block ×4, first 2 shown]
	s_waitcnt lgkmcnt(2)
	v_mul_f16_sdwa v44, v82, v59 dst_sel:DWORD dst_unused:UNUSED_PAD src0_sel:DWORD src1_sel:WORD_1
	v_mul_f16_sdwa v45, v20, v62 dst_sel:DWORD dst_unused:UNUSED_PAD src0_sel:DWORD src1_sel:WORD_1
	;; [unrolled: 1-line block ×4, first 2 shown]
	v_sub_f16_e32 v92, v90, v91
	v_sub_f16_e32 v96, v14, v86
	;; [unrolled: 1-line block ×3, first 2 shown]
	v_add_f16_e32 v51, v51, v52
	v_fma_f16 v16, -0.5, v53, v21
	v_add_f16_e32 v52, v93, v94
	v_fma_f16 v17, -0.5, v95, v42
	;; [unrolled: 2-line block ×4, first 2 shown]
	v_add_f16_e32 v42, v85, v104
	v_add_f16_e32 v57, v88, v90
	v_sub_f16_e32 v58, v81, v23
	v_sub_f16_e32 v85, v105, v106
	v_add_f16_e32 v88, v23, v106
	v_sub_f16_e32 v90, v47, v48
	v_sub_f16_e32 v94, v47, v49
	v_sub_f16_e32 v95, v48, v50
	v_add_f16_e32 v98, v49, v50
	v_sub_f16_e32 v99, v81, v105
	;; [unrolled: 4-line block ×3, first 2 shown]
	v_sub_f16_e32 v107, v50, v48
	v_add_f16_e32 v108, v47, v48
	v_add_f16_e32 v81, v81, v22
	;; [unrolled: 1-line block ×3, first 2 shown]
	v_fma_f16 v82, v59, v82, -v18
	v_fma_f16 v109, v60, v30, -v19
	;; [unrolled: 1-line block ×4, first 2 shown]
	v_fmac_f16_e32 v44, v38, v59
	v_fmac_f16_e32 v45, v41, v62
	;; [unrolled: 1-line block ×4, first 2 shown]
	s_waitcnt vmcnt(1)
	v_mul_f16_sdwa v78, v74, v64 dst_sel:DWORD dst_unused:UNUSED_PAD src0_sel:DWORD src1_sel:WORD_1
	v_mul_f16_sdwa v111, v79, v65 dst_sel:DWORD dst_unused:UNUSED_PAD src0_sel:DWORD src1_sel:WORD_1
	;; [unrolled: 1-line block ×5, first 2 shown]
	s_waitcnt lgkmcnt(1)
	v_mul_f16_sdwa v61, v83, v63 dst_sel:DWORD dst_unused:UNUSED_PAD src0_sel:DWORD src1_sel:WORD_1
	v_mul_f16_sdwa v62, v76, v66 dst_sel:DWORD dst_unused:UNUSED_PAD src0_sel:DWORD src1_sel:WORD_1
	v_sub_f16_e32 v93, v49, v50
	v_sub_f16_e32 v100, v23, v106
	v_mul_f16_sdwa v60, v35, v65 dst_sel:DWORD dst_unused:UNUSED_PAD src0_sel:DWORD src1_sel:WORD_1
	v_fmamk_f16 v20, v92, 0x3b9c, v14
	v_fmac_f16_e32 v14, 0xbb9c, v92
	v_add_f16_e32 v42, v87, v42
	v_add_f16_e32 v58, v58, v85
	v_fma_f16 v38, -0.5, v88, v22
	v_add_f16_e32 v85, v94, v95
	v_fma_f16 v39, -0.5, v98, v37
	;; [unrolled: 2-line block ×4, first 2 shown]
	v_add_f16_e32 v37, v23, v81
	v_add_f16_e32 v47, v47, v49
	v_sub_f16_e32 v49, v82, v109
	v_sub_f16_e32 v94, v44, v45
	;; [unrolled: 1-line block ×6, first 2 shown]
	v_add_f16_e32 v112, v82, v110
	v_sub_f16_e32 v113, v46, v44
	v_add_f16_e32 v115, v44, v45
	v_add_f16_e32 v82, v82, v72
	;; [unrolled: 1-line block ×3, first 2 shown]
	v_fmac_f16_e32 v78, v36, v64
	v_fmac_f16_e32 v111, v35, v65
	v_fmamk_f16 v21, v97, 0xbb9c, v15
	v_fmac_f16_e32 v15, 0x3b9c, v97
	v_add_f16_e32 v57, v57, v91
	v_sub_f16_e32 v81, v110, v43
	v_add_f16_e32 v91, v109, v43
	v_add_f16_e32 v102, v46, v55
	v_sub_f16_e32 v108, v43, v110
	v_sub_f16_e32 v114, v55, v45
	v_fma_f16 v40, v63, v83, -v40
	v_fma_f16 v41, v64, v74, -v41
	;; [unrolled: 1-line block ×3, first 2 shown]
	v_fmac_f16_e32 v61, v34, v63
	v_fmac_f16_e32 v62, v33, v66
	v_fmamk_f16 v18, v54, 0xbb9c, v16
	v_fmac_f16_e32 v16, 0x3b9c, v54
	v_fma_f16 v60, v65, v79, -v60
	s_waitcnt vmcnt(0)
	v_mul_f16_sdwa v63, v28, v67 dst_sel:DWORD dst_unused:UNUSED_PAD src0_sel:DWORD src1_sel:WORD_1
	v_mul_f16_sdwa v64, v27, v68 dst_sel:DWORD dst_unused:UNUSED_PAD src0_sel:DWORD src1_sel:WORD_1
	;; [unrolled: 1-line block ×8, first 2 shown]
	v_fmac_f16_e32 v20, 0xb8b4, v54
	v_fmac_f16_e32 v14, 0x38b4, v54
	v_add_f16_e32 v22, v86, v42
	v_fmamk_f16 v36, v100, 0xbb9c, v30
	v_fmac_f16_e32 v30, 0x3b9c, v100
	v_add_f16_e32 v42, v106, v37
	v_add_f16_e32 v54, v98, v101
	;; [unrolled: 1-line block ×5, first 2 shown]
	v_fmamk_f16 v19, v96, 0x3b9c, v17
	v_fmac_f16_e32 v17, 0xbb9c, v96
	v_sub_f16_e32 v95, v46, v55
	v_sub_f16_e32 v104, v109, v43
	v_fmac_f16_e32 v21, 0x38b4, v96
	v_fmac_f16_e32 v15, 0xb8b4, v96
	v_add_f16_e32 v23, v89, v57
	v_add_f16_e32 v47, v47, v50
	;; [unrolled: 1-line block ×3, first 2 shown]
	v_fma_f16 v50, -0.5, v91, v72
	v_fma_f16 v57, -0.5, v102, v32
	v_add_f16_e32 v81, v107, v108
	v_fma_f16 v37, -0.5, v112, v72
	v_add_f16_e32 v72, v113, v114
	v_sub_f16_e32 v46, v40, v41
	v_sub_f16_e32 v91, v61, v62
	;; [unrolled: 1-line block ×5, first 2 shown]
	v_add_f16_e32 v108, v40, v59
	v_sub_f16_e32 v109, v78, v61
	v_add_f16_e32 v113, v61, v62
	v_add_f16_e32 v40, v40, v73
	;; [unrolled: 1-line block ×4, first 2 shown]
	v_fma_f16 v63, v67, v71, -v63
	v_fma_f16 v64, v68, v75, -v64
	;; [unrolled: 1-line block ×4, first 2 shown]
	v_fmac_f16_e32 v74, v28, v67
	v_fmac_f16_e32 v76, v31, v70
	;; [unrolled: 1-line block ×6, first 2 shown]
	v_add_f16_e32 v27, v105, v42
	v_add_f16_e32 v42, v43, v82
	;; [unrolled: 1-line block ×3, first 2 shown]
	v_fma_f16 v55, -0.5, v98, v26
	v_fmamk_f16 v31, v103, 0x3b9c, v57
	v_fmac_f16_e32 v57, 0xbb9c, v103
	v_fma_f16 v67, -0.5, v113, v26
	v_add_f16_e32 v26, v41, v40
	v_add_f16_e32 v40, v61, v78
	v_fmac_f16_e32 v18, 0xb8b4, v92
	v_fmac_f16_e32 v19, 0x38b4, v97
	;; [unrolled: 1-line block ×4, first 2 shown]
	v_sub_f16_e32 v86, v59, v60
	v_sub_f16_e32 v97, v62, v111
	;; [unrolled: 1-line block ×3, first 2 shown]
	v_fmac_f16_e32 v20, 0x34f2, v53
	v_fmac_f16_e32 v21, 0x34f2, v56
	;; [unrolled: 1-line block ×4, first 2 shown]
	v_fma_f16 v53, -0.5, v89, v73
	v_fma_f16 v56, -0.5, v108, v73
	v_sub_f16_e32 v41, v63, v64
	v_sub_f16_e32 v61, v65, v66
	v_add_f16_e32 v68, v64, v66
	v_sub_f16_e32 v71, v74, v79
	v_sub_f16_e32 v73, v76, v83
	v_add_f16_e32 v82, v63, v65
	v_fmac_f16_e32 v36, 0x34f2, v88
	v_fmac_f16_e32 v30, 0x34f2, v88
	v_fmamk_f16 v88, v101, 0x3b9c, v55
	v_fmac_f16_e32 v55, 0xbb9c, v101
	v_fmamk_f16 v33, v90, 0xbb9c, v38
	v_fmac_f16_e32 v38, 0x3b9c, v90
	v_fmac_f16_e32 v31, 0x38b4, v104
	;; [unrolled: 1-line block ×3, first 2 shown]
	v_add_f16_e32 v26, v60, v26
	v_add_f16_e32 v40, v40, v111
	v_sub_f16_e32 v107, v60, v59
	v_fmac_f16_e32 v18, 0x34f2, v51
	v_fmac_f16_e32 v16, 0x34f2, v51
	v_fmamk_f16 v51, v95, 0x3b9c, v37
	v_fmac_f16_e32 v37, 0xbb9c, v95
	v_add_f16_e32 v44, v46, v86
	v_add_f16_e32 v46, v96, v97
	v_sub_f16_e32 v70, v79, v83
	v_add_f16_e32 v75, v79, v83
	v_add_f16_e32 v86, v74, v76
	;; [unrolled: 1-line block ×3, first 2 shown]
	s_waitcnt lgkmcnt(0)
	v_fma_f16 v61, -0.5, v68, v84
	v_add_f16_e32 v68, v71, v73
	v_fma_f16 v73, -0.5, v82, v84
	v_fmac_f16_e32 v88, 0x38b4, v102
	v_fmac_f16_e32 v55, 0xb8b4, v102
	;; [unrolled: 1-line block ×6, first 2 shown]
	v_add_f16_e32 v54, v59, v26
	v_add_f16_e32 v59, v62, v40
	v_sub_f16_e32 v40, v79, v74
	v_sub_f16_e32 v41, v83, v76
	v_fmamk_f16 v34, v99, 0x3b9c, v39
	v_fmac_f16_e32 v39, 0xbb9c, v99
	v_sub_f16_e32 v92, v78, v111
	v_sub_f16_e32 v69, v74, v76
	;; [unrolled: 1-line block ×4, first 2 shown]
	v_fmac_f16_e32 v51, 0xb8b4, v94
	v_fmac_f16_e32 v37, 0x38b4, v94
	v_fma_f16 v71, -0.5, v75, v25
	v_fmac_f16_e32 v88, 0x34f2, v46
	v_fmac_f16_e32 v55, 0x34f2, v46
	v_fma_f16 v46, -0.5, v86, v25
	v_sub_f16_e32 v26, v66, v65
	v_fmamk_f16 v75, v70, 0x3b9c, v73
	v_fmac_f16_e32 v73, 0xbb9c, v70
	v_fmac_f16_e32 v33, 0x34f2, v58
	;; [unrolled: 1-line block ×3, first 2 shown]
	v_add_f16_e32 v58, v110, v42
	v_add_f16_e32 v42, v40, v41
	v_mad_u64_u32 v[40:41], null, s2, v4, 0
	v_fmac_f16_e32 v34, 0x38b4, v100
	v_fmac_f16_e32 v39, 0xb8b4, v100
	v_sub_f16_e32 v77, v63, v65
	v_fmac_f16_e32 v51, 0x34f2, v81
	v_fmac_f16_e32 v37, 0x34f2, v81
	v_fmamk_f16 v81, v78, 0xbb9c, v46
	v_add_f16_e32 v26, v80, v26
	v_fmac_f16_e32 v75, 0xb8b4, v69
	v_fmac_f16_e32 v46, 0x3b9c, v78
	v_fmac_f16_e32 v73, 0x38b4, v69
	v_fmamk_f16 v35, v93, 0x3b9c, v24
	v_fmac_f16_e32 v24, 0xbb9c, v93
	v_fmac_f16_e32 v34, 0x34f2, v85
	;; [unrolled: 1-line block ×3, first 2 shown]
	v_add_f16_e32 v85, v45, v43
	v_fmac_f16_e32 v81, 0x38b4, v77
	v_fmac_f16_e32 v75, 0x34f2, v26
	;; [unrolled: 1-line block ×4, first 2 shown]
	v_add_f16_e32 v26, v63, v84
	v_add_f16_e32 v43, v25, v74
	v_mov_b32_e32 v25, v41
	v_sub_f16_e32 v112, v111, v62
	v_fmac_f16_e32 v35, 0xb8b4, v90
	v_fmac_f16_e32 v24, 0x38b4, v90
	v_fmamk_f16 v90, v102, 0xbb9c, v67
	v_fmac_f16_e32 v67, 0x3b9c, v102
	v_fmac_f16_e32 v81, 0x34f2, v42
	;; [unrolled: 1-line block ×3, first 2 shown]
	v_add_f16_e32 v41, v64, v26
	v_add_f16_e32 v42, v43, v79
	v_mad_u64_u32 v[25:26], null, s3, v4, v[25:26]
	v_add_f16_e32 v28, v48, v47
	v_add_f16_e32 v48, v109, v112
	v_fmamk_f16 v89, v92, 0x3b9c, v56
	v_fmac_f16_e32 v56, 0xbb9c, v92
	v_fmac_f16_e32 v90, 0x38b4, v101
	v_fmac_f16_e32 v67, 0xb8b4, v101
	v_add_f16_e32 v26, v66, v41
	v_add_f16_e32 v41, v42, v83
	v_fmamk_f16 v29, v94, 0xbb9c, v50
	v_fmac_f16_e32 v50, 0x3b9c, v94
	v_mad_u64_u32 v[42:43], null, s2, v13, 0
	v_add_f16_e32 v47, v106, v107
	v_fmac_f16_e32 v89, 0xb8b4, v91
	v_fmac_f16_e32 v56, 0x38b4, v91
	;; [unrolled: 1-line block ×4, first 2 shown]
	v_add_f16_e32 v48, v76, v41
	v_mov_b32_e32 v41, v25
	v_fmac_f16_e32 v35, 0x34f2, v87
	v_fmac_f16_e32 v24, 0x34f2, v87
	;; [unrolled: 1-line block ×4, first 2 shown]
	v_fmamk_f16 v87, v91, 0xbb9c, v53
	v_fmac_f16_e32 v53, 0x3b9c, v91
	v_fmac_f16_e32 v89, 0x34f2, v47
	;; [unrolled: 1-line block ×3, first 2 shown]
	v_add_f16_e32 v47, v65, v26
	v_lshlrev_b64 v[25:26], 2, v[40:41]
	v_mad_u64_u32 v[40:41], null, s2, v12, 0
	v_add_co_u32 v63, vcc_lo, s12, v0
	v_mov_b32_e32 v0, v43
	v_fmac_f16_e32 v29, 0x34f2, v49
	v_fmac_f16_e32 v50, 0x34f2, v49
	;; [unrolled: 1-line block ×4, first 2 shown]
	v_add_nc_u32_e32 v49, 0x348, v4
	v_fma_f16 v32, -0.5, v115, v32
	v_add_co_ci_u32_e32 v64, vcc_lo, s13, v1, vcc_lo
	v_mad_u64_u32 v[0:1], null, s3, v13, v[0:1]
	v_fmac_f16_e32 v87, 0x34f2, v44
	v_fmac_f16_e32 v53, 0x34f2, v44
	v_mov_b32_e32 v1, v41
	v_mad_u64_u32 v[44:45], null, s2, v49, 0
	v_fmac_f16_e32 v19, 0x34f2, v52
	v_fmac_f16_e32 v17, 0x34f2, v52
	v_fmamk_f16 v52, v104, 0xbb9c, v32
	v_fmac_f16_e32 v32, 0x3b9c, v104
	v_mad_u64_u32 v[12:13], null, s3, v12, v[1:2]
	v_add_co_u32 v25, vcc_lo, v63, v25
	v_fmac_f16_e32 v52, 0x38b4, v103
	v_fmac_f16_e32 v32, 0xb8b4, v103
	v_add_co_ci_u32_e32 v26, vcc_lo, v64, v26, vcc_lo
	v_pack_b32_f16 v41, v48, v47
	v_mov_b32_e32 v43, v0
	v_mov_b32_e32 v0, v45
	v_add_nc_u32_e32 v47, 0x460, v4
	v_fmac_f16_e32 v52, 0x34f2, v72
	v_fmac_f16_e32 v32, 0x34f2, v72
	v_fmamk_f16 v62, v69, 0xbb9c, v61
	v_fmamk_f16 v72, v77, 0x3b9c, v71
	v_fmac_f16_e32 v61, 0x3b9c, v69
	v_fmac_f16_e32 v71, 0xbb9c, v77
	global_store_dword v[25:26], v41, off
	v_mov_b32_e32 v41, v12
	v_mad_u64_u32 v[0:1], null, s3, v49, v[0:1]
	v_mad_u64_u32 v[12:13], null, s2, v47, 0
	v_fmac_f16_e32 v61, 0x38b4, v70
	v_fmac_f16_e32 v71, 0xb8b4, v78
	v_lshlrev_b64 v[25:26], 2, v[42:43]
	v_fmac_f16_e32 v62, 0xb8b4, v70
	v_mov_b32_e32 v45, v0
	v_fmac_f16_e32 v61, 0x34f2, v60
	v_fmac_f16_e32 v71, 0x34f2, v68
	v_mov_b32_e32 v0, v13
	v_mad_u64_u32 v[42:43], null, s2, v11, 0
	v_lshlrev_b64 v[40:41], 2, v[40:41]
	v_fmac_f16_e32 v62, 0x34f2, v60
	v_add_co_u32 v25, vcc_lo, v63, v25
	v_pack_b32_f16 v60, v71, v61
	v_pack_b32_f16 v61, v46, v73
	v_lshlrev_b64 v[44:45], 2, v[44:45]
	v_mad_u64_u32 v[0:1], null, s3, v47, v[0:1]
	v_mad_u64_u32 v[46:47], null, s2, v10, 0
	v_add_co_ci_u32_e32 v26, vcc_lo, v64, v26, vcc_lo
	v_add_co_u32 v40, vcc_lo, v63, v40
	v_mov_b32_e32 v1, v43
	v_add_co_ci_u32_e32 v41, vcc_lo, v64, v41, vcc_lo
	v_add_co_u32 v43, vcc_lo, v63, v44
	v_add_co_ci_u32_e32 v44, vcc_lo, v64, v45, vcc_lo
	v_mad_u64_u32 v[48:49], null, s3, v11, v[1:2]
	v_mov_b32_e32 v13, v0
	v_pack_b32_f16 v1, v81, v75
	v_mov_b32_e32 v0, v47
	global_store_dword v[25:26], v60, off
	global_store_dword v[40:41], v61, off
	v_mad_u64_u32 v[25:26], null, s2, v7, 0
	global_store_dword v[43:44], v1, off
	v_mad_u64_u32 v[0:1], null, s3, v10, v[0:1]
	v_lshlrev_b64 v[11:12], 2, v[12:13]
	v_mov_b32_e32 v43, v48
	v_or_b32_e32 v45, 0x380, v4
	v_fmac_f16_e32 v72, 0x38b4, v78
	v_pack_b32_f16 v49, v59, v54
	v_pack_b32_f16 v29, v31, v29
	v_mov_b32_e32 v47, v0
	v_add_co_u32 v10, vcc_lo, v63, v11
	v_add_co_ci_u32_e32 v11, vcc_lo, v64, v12, vcc_lo
	v_lshlrev_b64 v[40:41], 2, v[46:47]
	v_add_nc_u32_e32 v47, 0x498, v4
	v_lshlrev_b64 v[12:13], 2, v[42:43]
	v_mad_u64_u32 v[42:43], null, s3, v7, v[26:27]
	v_mad_u64_u32 v[0:1], null, s2, v45, 0
	;; [unrolled: 1-line block ×3, first 2 shown]
	v_fmac_f16_e32 v72, 0x34f2, v68
	v_add_co_u32 v12, vcc_lo, v63, v12
	v_add_co_ci_u32_e32 v13, vcc_lo, v64, v13, vcc_lo
	v_pack_b32_f16 v48, v72, v62
	v_mov_b32_e32 v7, v44
	v_mad_u64_u32 v[45:46], null, s3, v45, v[1:2]
	v_mov_b32_e32 v26, v42
	v_add_co_u32 v40, vcc_lo, v63, v40
	v_add_co_ci_u32_e32 v41, vcc_lo, v64, v41, vcc_lo
	v_pack_b32_f16 v1, v55, v53
	global_store_dword v[10:11], v48, off
	global_store_dword v[12:13], v49, off
	v_mad_u64_u32 v[12:13], null, s3, v47, v[7:8]
	v_lshlrev_b64 v[10:11], 2, v[25:26]
	v_mad_u64_u32 v[25:26], null, s2, v9, 0
	global_store_dword v[40:41], v1, off
	v_mov_b32_e32 v1, v45
	v_mad_u64_u32 v[40:41], null, s2, v6, 0
	v_mov_b32_e32 v44, v12
	v_add_co_u32 v10, vcc_lo, v63, v10
	v_lshlrev_b64 v[0:1], 2, v[0:1]
	v_mov_b32_e32 v7, v26
	v_lshlrev_b64 v[12:13], 2, v[43:44]
	v_add_co_ci_u32_e32 v11, vcc_lo, v64, v11, vcc_lo
	v_pack_b32_f16 v45, v67, v56
	v_mad_u64_u32 v[42:43], null, s3, v9, v[7:8]
	v_add_co_u32 v0, vcc_lo, v63, v0
	v_mov_b32_e32 v7, v41
	v_mad_u64_u32 v[43:44], null, s2, v8, 0
	v_add_co_ci_u32_e32 v1, vcc_lo, v64, v1, vcc_lo
	v_add_co_u32 v12, vcc_lo, v63, v12
	v_pack_b32_f16 v46, v90, v89
	v_add_co_ci_u32_e32 v13, vcc_lo, v64, v13, vcc_lo
	v_pack_b32_f16 v9, v88, v87
	v_mad_u64_u32 v[6:7], null, s3, v6, v[7:8]
	v_mov_b32_e32 v26, v42
	global_store_dword v[10:11], v45, off
	global_store_dword v[0:1], v46, off
	;; [unrolled: 1-line block ×3, first 2 shown]
	v_mov_b32_e32 v0, v44
	v_add_nc_u32_e32 v42, 0x3b8, v4
	v_add_nc_u32_e32 v46, 0x4d0, v4
	v_lshlrev_b64 v[9:10], 2, v[25:26]
	v_mov_b32_e32 v41, v6
	v_mad_u64_u32 v[0:1], null, s3, v8, v[0:1]
	v_mad_u64_u32 v[6:7], null, s2, v42, 0
	;; [unrolled: 1-line block ×3, first 2 shown]
	v_add_co_u32 v8, vcc_lo, v63, v9
	v_mov_b32_e32 v44, v0
	v_add_co_ci_u32_e32 v9, vcc_lo, v64, v10, vcc_lo
	v_mov_b32_e32 v0, v7
	v_lshlrev_b64 v[10:11], 2, v[40:41]
	v_lshlrev_b64 v[25:26], 2, v[43:44]
	v_mad_u64_u32 v[40:41], null, s2, v5, 0
	v_mad_u64_u32 v[0:1], null, s3, v42, v[0:1]
	v_mov_b32_e32 v1, v13
	v_add_co_u32 v10, vcc_lo, v63, v10
	v_add_co_ci_u32_e32 v11, vcc_lo, v64, v11, vcc_lo
	v_mad_u64_u32 v[42:43], null, s3, v46, v[1:2]
	v_mov_b32_e32 v7, v0
	v_add_co_u32 v25, vcc_lo, v63, v25
	v_pack_b32_f16 v45, v85, v58
	v_add_co_ci_u32_e32 v26, vcc_lo, v64, v26, vcc_lo
	v_lshlrev_b64 v[6:7], 2, v[6:7]
	v_pack_b32_f16 v1, v32, v37
	v_mov_b32_e32 v0, v41
	v_pack_b32_f16 v47, v57, v50
	v_mov_b32_e32 v13, v42
	global_store_dword v[8:9], v45, off
	global_store_dword v[10:11], v47, off
	;; [unrolled: 1-line block ×3, first 2 shown]
	v_mad_u64_u32 v[0:1], null, s3, v5, v[0:1]
	v_add_co_u32 v5, vcc_lo, v63, v6
	v_mad_u64_u32 v[9:10], null, s2, v2, 0
	v_add_co_ci_u32_e32 v6, vcc_lo, v64, v7, vcc_lo
	v_lshlrev_b64 v[7:8], 2, v[12:13]
	v_mov_b32_e32 v41, v0
	v_add_nc_u32_e32 v42, 0x2d8, v4
	v_pack_b32_f16 v37, v52, v51
	v_pack_b32_f16 v24, v30, v24
	;; [unrolled: 1-line block ×3, first 2 shown]
	v_add_co_u32 v0, vcc_lo, v63, v7
	v_mov_b32_e32 v7, v10
	v_add_co_ci_u32_e32 v1, vcc_lo, v64, v8, vcc_lo
	v_mad_u64_u32 v[12:13], null, s2, v42, 0
	v_mad_u64_u32 v[7:8], null, s3, v2, v[7:8]
	v_add_nc_u32_e32 v8, 0x3f0, v4
	v_lshlrev_b64 v[10:11], 2, v[40:41]
	v_mov_b32_e32 v2, v13
	v_mad_u64_u32 v[31:32], null, s2, v8, 0
	v_add_co_u32 v25, vcc_lo, v63, v10
	v_mov_b32_e32 v10, v7
	v_add_co_ci_u32_e32 v26, vcc_lo, v64, v11, vcc_lo
	v_pack_b32_f16 v11, v28, v27
	v_mad_u64_u32 v[27:28], null, s3, v42, v[2:3]
	global_store_dword v[5:6], v37, off
	global_store_dword v[0:1], v29, off
	;; [unrolled: 1-line block ×3, first 2 shown]
	v_lshlrev_b64 v[1:2], 2, v[9:10]
	v_mov_b32_e32 v0, v32
	v_add_nc_u32_e32 v11, 0x508, v4
	v_lshrrev_b32_e32 v9, 3, v3
	v_mov_b32_e32 v13, v27
	v_mad_u64_u32 v[4:5], null, s3, v8, v[0:1]
	v_mad_u64_u32 v[5:6], null, s2, v11, 0
	v_add_co_u32 v0, vcc_lo, v63, v1
	v_add_co_ci_u32_e32 v1, vcc_lo, v64, v2, vcc_lo
	v_mov_b32_e32 v32, v4
	v_mul_hi_u32 v4, 0xea0ea0f, v9
	v_mov_b32_e32 v2, v6
	v_lshlrev_b64 v[7:8], 2, v[12:13]
	v_pack_b32_f16 v13, v39, v38
	v_lshlrev_b64 v[9:10], 2, v[31:32]
	v_mad_u64_u32 v[11:12], null, s3, v11, v[2:3]
	v_lshrrev_b32_e32 v2, 1, v4
	v_add_co_u32 v7, vcc_lo, v63, v7
	v_add_co_ci_u32_e32 v8, vcc_lo, v64, v8, vcc_lo
	v_add_co_u32 v9, vcc_lo, v63, v9
	v_mad_u32_u24 v12, 0x460, v2, v3
	v_add_co_ci_u32_e32 v10, vcc_lo, v64, v10, vcc_lo
	v_pack_b32_f16 v4, v36, v35
	v_mov_b32_e32 v6, v11
	global_store_dword v[0:1], v13, off
	global_store_dword v[7:8], v24, off
	;; [unrolled: 1-line block ×3, first 2 shown]
	v_add_nc_u32_e32 v10, 0x118, v12
	v_add_nc_u32_e32 v13, 0x230, v12
	v_lshlrev_b64 v[0:1], 2, v[5:6]
	v_mad_u64_u32 v[2:3], null, s2, v12, 0
	v_mad_u64_u32 v[4:5], null, s2, v10, 0
	;; [unrolled: 1-line block ×3, first 2 shown]
	v_add_nc_u32_e32 v25, 0x348, v12
	v_add_co_u32 v0, vcc_lo, v63, v0
	v_add_co_ci_u32_e32 v1, vcc_lo, v64, v1, vcc_lo
	v_mad_u64_u32 v[8:9], null, s3, v12, v[3:4]
	v_mad_u64_u32 v[9:10], null, s3, v10, v[5:6]
	v_mov_b32_e32 v5, v7
	v_mad_u64_u32 v[10:11], null, s2, v25, 0
	v_add_nc_u32_e32 v12, 0x460, v12
	v_pack_b32_f16 v24, v34, v33
	v_mov_b32_e32 v3, v8
	v_mad_u64_u32 v[7:8], null, s3, v13, v[5:6]
	v_mov_b32_e32 v5, v9
	v_mad_u64_u32 v[8:9], null, s2, v12, 0
	global_store_dword v[0:1], v24, off
	v_lshlrev_b64 v[0:1], 2, v[2:3]
	v_mov_b32_e32 v2, v11
	v_lshlrev_b64 v[4:5], 2, v[4:5]
	v_lshlrev_b64 v[6:7], 2, v[6:7]
	v_mad_u64_u32 v[2:3], null, s3, v25, v[2:3]
	v_mov_b32_e32 v3, v9
	v_add_co_u32 v0, vcc_lo, v63, v0
	v_add_co_ci_u32_e32 v1, vcc_lo, v64, v1, vcc_lo
	v_mad_u64_u32 v[12:13], null, s3, v12, v[3:4]
	v_mov_b32_e32 v11, v2
	v_add_co_u32 v2, vcc_lo, v63, v4
	v_add_co_ci_u32_e32 v3, vcc_lo, v64, v5, vcc_lo
	v_lshlrev_b64 v[4:5], 2, v[10:11]
	v_mov_b32_e32 v9, v12
	v_add_co_u32 v6, vcc_lo, v63, v6
	v_add_co_ci_u32_e32 v7, vcc_lo, v64, v7, vcc_lo
	v_lshlrev_b64 v[8:9], 2, v[8:9]
	v_add_co_u32 v4, vcc_lo, v63, v4
	v_pack_b32_f16 v13, v17, v16
	v_add_co_ci_u32_e32 v5, vcc_lo, v64, v5, vcc_lo
	v_pack_b32_f16 v10, v15, v14
	v_add_co_u32 v8, vcc_lo, v63, v8
	v_pack_b32_f16 v11, v21, v20
	v_add_co_ci_u32_e32 v9, vcc_lo, v64, v9, vcc_lo
	v_pack_b32_f16 v12, v19, v18
	global_store_dword v[0:1], v22, off
	global_store_dword v[2:3], v13, off
	global_store_dword v[6:7], v10, off
	global_store_dword v[4:5], v11, off
	global_store_dword v[8:9], v12, off
.LBB0_45:
	s_endpgm
	.section	.rodata,"a",@progbits
	.p2align	6, 0x0
	.amdhsa_kernel fft_rtc_back_len1400_factors_2_2_2_5_7_5_wgs_56_tpt_56_halfLds_half_ip_CI_sbrr_dirReg
		.amdhsa_group_segment_fixed_size 0
		.amdhsa_private_segment_fixed_size 0
		.amdhsa_kernarg_size 88
		.amdhsa_user_sgpr_count 6
		.amdhsa_user_sgpr_private_segment_buffer 1
		.amdhsa_user_sgpr_dispatch_ptr 0
		.amdhsa_user_sgpr_queue_ptr 0
		.amdhsa_user_sgpr_kernarg_segment_ptr 1
		.amdhsa_user_sgpr_dispatch_id 0
		.amdhsa_user_sgpr_flat_scratch_init 0
		.amdhsa_user_sgpr_private_segment_size 0
		.amdhsa_wavefront_size32 1
		.amdhsa_uses_dynamic_stack 0
		.amdhsa_system_sgpr_private_segment_wavefront_offset 0
		.amdhsa_system_sgpr_workgroup_id_x 1
		.amdhsa_system_sgpr_workgroup_id_y 0
		.amdhsa_system_sgpr_workgroup_id_z 0
		.amdhsa_system_sgpr_workgroup_info 0
		.amdhsa_system_vgpr_workitem_id 0
		.amdhsa_next_free_vgpr 133
		.amdhsa_next_free_sgpr 23
		.amdhsa_reserve_vcc 1
		.amdhsa_reserve_flat_scratch 0
		.amdhsa_float_round_mode_32 0
		.amdhsa_float_round_mode_16_64 0
		.amdhsa_float_denorm_mode_32 3
		.amdhsa_float_denorm_mode_16_64 3
		.amdhsa_dx10_clamp 1
		.amdhsa_ieee_mode 1
		.amdhsa_fp16_overflow 0
		.amdhsa_workgroup_processor_mode 1
		.amdhsa_memory_ordered 1
		.amdhsa_forward_progress 0
		.amdhsa_shared_vgpr_count 0
		.amdhsa_exception_fp_ieee_invalid_op 0
		.amdhsa_exception_fp_denorm_src 0
		.amdhsa_exception_fp_ieee_div_zero 0
		.amdhsa_exception_fp_ieee_overflow 0
		.amdhsa_exception_fp_ieee_underflow 0
		.amdhsa_exception_fp_ieee_inexact 0
		.amdhsa_exception_int_div_zero 0
	.end_amdhsa_kernel
	.text
.Lfunc_end0:
	.size	fft_rtc_back_len1400_factors_2_2_2_5_7_5_wgs_56_tpt_56_halfLds_half_ip_CI_sbrr_dirReg, .Lfunc_end0-fft_rtc_back_len1400_factors_2_2_2_5_7_5_wgs_56_tpt_56_halfLds_half_ip_CI_sbrr_dirReg
                                        ; -- End function
	.section	.AMDGPU.csdata,"",@progbits
; Kernel info:
; codeLenInByte = 19792
; NumSgprs: 25
; NumVgprs: 133
; ScratchSize: 0
; MemoryBound: 0
; FloatMode: 240
; IeeeMode: 1
; LDSByteSize: 0 bytes/workgroup (compile time only)
; SGPRBlocks: 3
; VGPRBlocks: 16
; NumSGPRsForWavesPerEU: 25
; NumVGPRsForWavesPerEU: 133
; Occupancy: 7
; WaveLimiterHint : 1
; COMPUTE_PGM_RSRC2:SCRATCH_EN: 0
; COMPUTE_PGM_RSRC2:USER_SGPR: 6
; COMPUTE_PGM_RSRC2:TRAP_HANDLER: 0
; COMPUTE_PGM_RSRC2:TGID_X_EN: 1
; COMPUTE_PGM_RSRC2:TGID_Y_EN: 0
; COMPUTE_PGM_RSRC2:TGID_Z_EN: 0
; COMPUTE_PGM_RSRC2:TIDIG_COMP_CNT: 0
	.text
	.p2alignl 6, 3214868480
	.fill 48, 4, 3214868480
	.type	__hip_cuid_ee18368369ba825d,@object ; @__hip_cuid_ee18368369ba825d
	.section	.bss,"aw",@nobits
	.globl	__hip_cuid_ee18368369ba825d
__hip_cuid_ee18368369ba825d:
	.byte	0                               ; 0x0
	.size	__hip_cuid_ee18368369ba825d, 1

	.ident	"AMD clang version 19.0.0git (https://github.com/RadeonOpenCompute/llvm-project roc-6.4.0 25133 c7fe45cf4b819c5991fe208aaa96edf142730f1d)"
	.section	".note.GNU-stack","",@progbits
	.addrsig
	.addrsig_sym __hip_cuid_ee18368369ba825d
	.amdgpu_metadata
---
amdhsa.kernels:
  - .args:
      - .actual_access:  read_only
        .address_space:  global
        .offset:         0
        .size:           8
        .value_kind:     global_buffer
      - .offset:         8
        .size:           8
        .value_kind:     by_value
      - .actual_access:  read_only
        .address_space:  global
        .offset:         16
        .size:           8
        .value_kind:     global_buffer
      - .actual_access:  read_only
        .address_space:  global
        .offset:         24
        .size:           8
        .value_kind:     global_buffer
      - .offset:         32
        .size:           8
        .value_kind:     by_value
      - .actual_access:  read_only
        .address_space:  global
        .offset:         40
        .size:           8
        .value_kind:     global_buffer
      - .actual_access:  read_only
        .address_space:  global
        .offset:         48
        .size:           8
        .value_kind:     global_buffer
      - .offset:         56
        .size:           4
        .value_kind:     by_value
      - .actual_access:  read_only
        .address_space:  global
        .offset:         64
        .size:           8
        .value_kind:     global_buffer
      - .actual_access:  read_only
        .address_space:  global
        .offset:         72
        .size:           8
        .value_kind:     global_buffer
      - .address_space:  global
        .offset:         80
        .size:           8
        .value_kind:     global_buffer
    .group_segment_fixed_size: 0
    .kernarg_segment_align: 8
    .kernarg_segment_size: 88
    .language:       OpenCL C
    .language_version:
      - 2
      - 0
    .max_flat_workgroup_size: 56
    .name:           fft_rtc_back_len1400_factors_2_2_2_5_7_5_wgs_56_tpt_56_halfLds_half_ip_CI_sbrr_dirReg
    .private_segment_fixed_size: 0
    .sgpr_count:     25
    .sgpr_spill_count: 0
    .symbol:         fft_rtc_back_len1400_factors_2_2_2_5_7_5_wgs_56_tpt_56_halfLds_half_ip_CI_sbrr_dirReg.kd
    .uniform_work_group_size: 1
    .uses_dynamic_stack: false
    .vgpr_count:     133
    .vgpr_spill_count: 0
    .wavefront_size: 32
    .workgroup_processor_mode: 1
amdhsa.target:   amdgcn-amd-amdhsa--gfx1030
amdhsa.version:
  - 1
  - 2
...

	.end_amdgpu_metadata
